;; amdgpu-corpus repo=ROCm/rocFFT kind=compiled arch=gfx1100 opt=O3
	.text
	.amdgcn_target "amdgcn-amd-amdhsa--gfx1100"
	.amdhsa_code_object_version 6
	.protected	fft_rtc_fwd_len1700_factors_17_10_10_wgs_170_tpt_170_halfLds_sp_ip_CI_unitstride_sbrr_R2C_dirReg ; -- Begin function fft_rtc_fwd_len1700_factors_17_10_10_wgs_170_tpt_170_halfLds_sp_ip_CI_unitstride_sbrr_R2C_dirReg
	.globl	fft_rtc_fwd_len1700_factors_17_10_10_wgs_170_tpt_170_halfLds_sp_ip_CI_unitstride_sbrr_R2C_dirReg
	.p2align	8
	.type	fft_rtc_fwd_len1700_factors_17_10_10_wgs_170_tpt_170_halfLds_sp_ip_CI_unitstride_sbrr_R2C_dirReg,@function
fft_rtc_fwd_len1700_factors_17_10_10_wgs_170_tpt_170_halfLds_sp_ip_CI_unitstride_sbrr_R2C_dirReg: ; @fft_rtc_fwd_len1700_factors_17_10_10_wgs_170_tpt_170_halfLds_sp_ip_CI_unitstride_sbrr_R2C_dirReg
; %bb.0:
	s_clause 0x2
	s_load_b128 s[4:7], s[0:1], 0x0
	s_load_b64 s[8:9], s[0:1], 0x50
	s_load_b64 s[10:11], s[0:1], 0x18
	v_mul_u32_u24_e32 v1, 0x182, v0
	v_mov_b32_e32 v3, 0
	v_mov_b32_e32 v4, 0
	s_delay_alu instid0(VALU_DEP_3) | instskip(SKIP_1) | instid1(VALU_DEP_1)
	v_lshrrev_b32_e32 v2, 16, v1
	v_mov_b32_e32 v1, 0
	v_dual_mov_b32 v6, v1 :: v_dual_add_nc_u32 v5, s15, v2
	s_waitcnt lgkmcnt(0)
	v_cmp_lt_u64_e64 s2, s[6:7], 2
	s_delay_alu instid0(VALU_DEP_1)
	s_and_b32 vcc_lo, exec_lo, s2
	s_cbranch_vccnz .LBB0_8
; %bb.1:
	s_load_b64 s[2:3], s[0:1], 0x10
	v_mov_b32_e32 v3, 0
	s_add_u32 s12, s10, 8
	v_mov_b32_e32 v4, 0
	s_addc_u32 s13, s11, 0
	s_mov_b64 s[16:17], 1
	s_waitcnt lgkmcnt(0)
	s_add_u32 s14, s2, 8
	s_addc_u32 s15, s3, 0
.LBB0_2:                                ; =>This Inner Loop Header: Depth=1
	s_load_b64 s[18:19], s[14:15], 0x0
                                        ; implicit-def: $vgpr7_vgpr8
	s_mov_b32 s2, exec_lo
	s_waitcnt lgkmcnt(0)
	v_or_b32_e32 v2, s19, v6
	s_delay_alu instid0(VALU_DEP_1)
	v_cmpx_ne_u64_e32 0, v[1:2]
	s_xor_b32 s3, exec_lo, s2
	s_cbranch_execz .LBB0_4
; %bb.3:                                ;   in Loop: Header=BB0_2 Depth=1
	v_cvt_f32_u32_e32 v2, s18
	v_cvt_f32_u32_e32 v7, s19
	s_sub_u32 s2, 0, s18
	s_subb_u32 s20, 0, s19
	s_delay_alu instid0(VALU_DEP_1) | instskip(NEXT) | instid1(VALU_DEP_1)
	v_fmac_f32_e32 v2, 0x4f800000, v7
	v_rcp_f32_e32 v2, v2
	s_waitcnt_depctr 0xfff
	v_mul_f32_e32 v2, 0x5f7ffffc, v2
	s_delay_alu instid0(VALU_DEP_1) | instskip(NEXT) | instid1(VALU_DEP_1)
	v_mul_f32_e32 v7, 0x2f800000, v2
	v_trunc_f32_e32 v7, v7
	s_delay_alu instid0(VALU_DEP_1) | instskip(SKIP_1) | instid1(VALU_DEP_2)
	v_fmac_f32_e32 v2, 0xcf800000, v7
	v_cvt_u32_f32_e32 v7, v7
	v_cvt_u32_f32_e32 v2, v2
	s_delay_alu instid0(VALU_DEP_2) | instskip(NEXT) | instid1(VALU_DEP_2)
	v_mul_lo_u32 v8, s2, v7
	v_mul_hi_u32 v9, s2, v2
	v_mul_lo_u32 v10, s20, v2
	s_delay_alu instid0(VALU_DEP_2) | instskip(SKIP_1) | instid1(VALU_DEP_2)
	v_add_nc_u32_e32 v8, v9, v8
	v_mul_lo_u32 v9, s2, v2
	v_add_nc_u32_e32 v8, v8, v10
	s_delay_alu instid0(VALU_DEP_2) | instskip(NEXT) | instid1(VALU_DEP_2)
	v_mul_hi_u32 v10, v2, v9
	v_mul_lo_u32 v11, v2, v8
	v_mul_hi_u32 v12, v2, v8
	v_mul_hi_u32 v13, v7, v9
	v_mul_lo_u32 v9, v7, v9
	v_mul_hi_u32 v14, v7, v8
	v_mul_lo_u32 v8, v7, v8
	v_add_co_u32 v10, vcc_lo, v10, v11
	v_add_co_ci_u32_e32 v11, vcc_lo, 0, v12, vcc_lo
	s_delay_alu instid0(VALU_DEP_2) | instskip(NEXT) | instid1(VALU_DEP_2)
	v_add_co_u32 v9, vcc_lo, v10, v9
	v_add_co_ci_u32_e32 v9, vcc_lo, v11, v13, vcc_lo
	v_add_co_ci_u32_e32 v10, vcc_lo, 0, v14, vcc_lo
	s_delay_alu instid0(VALU_DEP_2) | instskip(NEXT) | instid1(VALU_DEP_2)
	v_add_co_u32 v8, vcc_lo, v9, v8
	v_add_co_ci_u32_e32 v9, vcc_lo, 0, v10, vcc_lo
	s_delay_alu instid0(VALU_DEP_2) | instskip(NEXT) | instid1(VALU_DEP_2)
	v_add_co_u32 v2, vcc_lo, v2, v8
	v_add_co_ci_u32_e32 v7, vcc_lo, v7, v9, vcc_lo
	s_delay_alu instid0(VALU_DEP_2) | instskip(SKIP_1) | instid1(VALU_DEP_3)
	v_mul_hi_u32 v8, s2, v2
	v_mul_lo_u32 v10, s20, v2
	v_mul_lo_u32 v9, s2, v7
	s_delay_alu instid0(VALU_DEP_1) | instskip(SKIP_1) | instid1(VALU_DEP_2)
	v_add_nc_u32_e32 v8, v8, v9
	v_mul_lo_u32 v9, s2, v2
	v_add_nc_u32_e32 v8, v8, v10
	s_delay_alu instid0(VALU_DEP_2) | instskip(NEXT) | instid1(VALU_DEP_2)
	v_mul_hi_u32 v10, v2, v9
	v_mul_lo_u32 v11, v2, v8
	v_mul_hi_u32 v12, v2, v8
	v_mul_hi_u32 v13, v7, v9
	v_mul_lo_u32 v9, v7, v9
	v_mul_hi_u32 v14, v7, v8
	v_mul_lo_u32 v8, v7, v8
	v_add_co_u32 v10, vcc_lo, v10, v11
	v_add_co_ci_u32_e32 v11, vcc_lo, 0, v12, vcc_lo
	s_delay_alu instid0(VALU_DEP_2) | instskip(NEXT) | instid1(VALU_DEP_2)
	v_add_co_u32 v9, vcc_lo, v10, v9
	v_add_co_ci_u32_e32 v9, vcc_lo, v11, v13, vcc_lo
	v_add_co_ci_u32_e32 v10, vcc_lo, 0, v14, vcc_lo
	s_delay_alu instid0(VALU_DEP_2) | instskip(NEXT) | instid1(VALU_DEP_2)
	v_add_co_u32 v8, vcc_lo, v9, v8
	v_add_co_ci_u32_e32 v9, vcc_lo, 0, v10, vcc_lo
	s_delay_alu instid0(VALU_DEP_2) | instskip(NEXT) | instid1(VALU_DEP_2)
	v_add_co_u32 v2, vcc_lo, v2, v8
	v_add_co_ci_u32_e32 v13, vcc_lo, v7, v9, vcc_lo
	s_delay_alu instid0(VALU_DEP_2) | instskip(SKIP_1) | instid1(VALU_DEP_3)
	v_mul_hi_u32 v14, v5, v2
	v_mad_u64_u32 v[9:10], null, v6, v2, 0
	v_mad_u64_u32 v[7:8], null, v5, v13, 0
	;; [unrolled: 1-line block ×3, first 2 shown]
	s_delay_alu instid0(VALU_DEP_2) | instskip(NEXT) | instid1(VALU_DEP_3)
	v_add_co_u32 v2, vcc_lo, v14, v7
	v_add_co_ci_u32_e32 v7, vcc_lo, 0, v8, vcc_lo
	s_delay_alu instid0(VALU_DEP_2) | instskip(NEXT) | instid1(VALU_DEP_2)
	v_add_co_u32 v2, vcc_lo, v2, v9
	v_add_co_ci_u32_e32 v2, vcc_lo, v7, v10, vcc_lo
	v_add_co_ci_u32_e32 v7, vcc_lo, 0, v12, vcc_lo
	s_delay_alu instid0(VALU_DEP_2) | instskip(NEXT) | instid1(VALU_DEP_2)
	v_add_co_u32 v2, vcc_lo, v2, v11
	v_add_co_ci_u32_e32 v9, vcc_lo, 0, v7, vcc_lo
	s_delay_alu instid0(VALU_DEP_2) | instskip(SKIP_1) | instid1(VALU_DEP_3)
	v_mul_lo_u32 v10, s19, v2
	v_mad_u64_u32 v[7:8], null, s18, v2, 0
	v_mul_lo_u32 v11, s18, v9
	s_delay_alu instid0(VALU_DEP_2) | instskip(NEXT) | instid1(VALU_DEP_2)
	v_sub_co_u32 v7, vcc_lo, v5, v7
	v_add3_u32 v8, v8, v11, v10
	s_delay_alu instid0(VALU_DEP_1) | instskip(NEXT) | instid1(VALU_DEP_1)
	v_sub_nc_u32_e32 v10, v6, v8
	v_subrev_co_ci_u32_e64 v10, s2, s19, v10, vcc_lo
	v_add_co_u32 v11, s2, v2, 2
	s_delay_alu instid0(VALU_DEP_1) | instskip(SKIP_3) | instid1(VALU_DEP_3)
	v_add_co_ci_u32_e64 v12, s2, 0, v9, s2
	v_sub_co_u32 v13, s2, v7, s18
	v_sub_co_ci_u32_e32 v8, vcc_lo, v6, v8, vcc_lo
	v_subrev_co_ci_u32_e64 v10, s2, 0, v10, s2
	v_cmp_le_u32_e32 vcc_lo, s18, v13
	s_delay_alu instid0(VALU_DEP_3) | instskip(SKIP_1) | instid1(VALU_DEP_4)
	v_cmp_eq_u32_e64 s2, s19, v8
	v_cndmask_b32_e64 v13, 0, -1, vcc_lo
	v_cmp_le_u32_e32 vcc_lo, s19, v10
	v_cndmask_b32_e64 v14, 0, -1, vcc_lo
	v_cmp_le_u32_e32 vcc_lo, s18, v7
	;; [unrolled: 2-line block ×3, first 2 shown]
	v_cndmask_b32_e64 v15, 0, -1, vcc_lo
	v_cmp_eq_u32_e32 vcc_lo, s19, v10
	s_delay_alu instid0(VALU_DEP_2) | instskip(SKIP_3) | instid1(VALU_DEP_3)
	v_cndmask_b32_e64 v7, v15, v7, s2
	v_cndmask_b32_e32 v10, v14, v13, vcc_lo
	v_add_co_u32 v13, vcc_lo, v2, 1
	v_add_co_ci_u32_e32 v14, vcc_lo, 0, v9, vcc_lo
	v_cmp_ne_u32_e32 vcc_lo, 0, v10
	s_delay_alu instid0(VALU_DEP_2) | instskip(NEXT) | instid1(VALU_DEP_4)
	v_cndmask_b32_e32 v8, v14, v12, vcc_lo
	v_cndmask_b32_e32 v10, v13, v11, vcc_lo
	v_cmp_ne_u32_e32 vcc_lo, 0, v7
	s_delay_alu instid0(VALU_DEP_2)
	v_dual_cndmask_b32 v7, v2, v10 :: v_dual_cndmask_b32 v8, v9, v8
.LBB0_4:                                ;   in Loop: Header=BB0_2 Depth=1
	s_and_not1_saveexec_b32 s2, s3
	s_cbranch_execz .LBB0_6
; %bb.5:                                ;   in Loop: Header=BB0_2 Depth=1
	v_cvt_f32_u32_e32 v2, s18
	s_sub_i32 s3, 0, s18
	s_delay_alu instid0(VALU_DEP_1) | instskip(SKIP_2) | instid1(VALU_DEP_1)
	v_rcp_iflag_f32_e32 v2, v2
	s_waitcnt_depctr 0xfff
	v_mul_f32_e32 v2, 0x4f7ffffe, v2
	v_cvt_u32_f32_e32 v2, v2
	s_delay_alu instid0(VALU_DEP_1) | instskip(NEXT) | instid1(VALU_DEP_1)
	v_mul_lo_u32 v7, s3, v2
	v_mul_hi_u32 v7, v2, v7
	s_delay_alu instid0(VALU_DEP_1) | instskip(NEXT) | instid1(VALU_DEP_1)
	v_add_nc_u32_e32 v2, v2, v7
	v_mul_hi_u32 v2, v5, v2
	s_delay_alu instid0(VALU_DEP_1) | instskip(SKIP_1) | instid1(VALU_DEP_2)
	v_mul_lo_u32 v7, v2, s18
	v_add_nc_u32_e32 v8, 1, v2
	v_sub_nc_u32_e32 v7, v5, v7
	s_delay_alu instid0(VALU_DEP_1) | instskip(SKIP_1) | instid1(VALU_DEP_2)
	v_subrev_nc_u32_e32 v9, s18, v7
	v_cmp_le_u32_e32 vcc_lo, s18, v7
	v_dual_cndmask_b32 v7, v7, v9 :: v_dual_cndmask_b32 v2, v2, v8
	s_delay_alu instid0(VALU_DEP_1) | instskip(NEXT) | instid1(VALU_DEP_2)
	v_cmp_le_u32_e32 vcc_lo, s18, v7
	v_add_nc_u32_e32 v8, 1, v2
	s_delay_alu instid0(VALU_DEP_1)
	v_dual_cndmask_b32 v7, v2, v8 :: v_dual_mov_b32 v8, v1
.LBB0_6:                                ;   in Loop: Header=BB0_2 Depth=1
	s_or_b32 exec_lo, exec_lo, s2
	s_load_b64 s[2:3], s[12:13], 0x0
	s_delay_alu instid0(VALU_DEP_1) | instskip(NEXT) | instid1(VALU_DEP_2)
	v_mul_lo_u32 v2, v8, s18
	v_mul_lo_u32 v11, v7, s19
	v_mad_u64_u32 v[9:10], null, v7, s18, 0
	s_add_u32 s16, s16, 1
	s_addc_u32 s17, s17, 0
	s_add_u32 s12, s12, 8
	s_addc_u32 s13, s13, 0
	;; [unrolled: 2-line block ×3, first 2 shown]
	s_delay_alu instid0(VALU_DEP_1) | instskip(SKIP_1) | instid1(VALU_DEP_2)
	v_add3_u32 v2, v10, v11, v2
	v_sub_co_u32 v9, vcc_lo, v5, v9
	v_sub_co_ci_u32_e32 v2, vcc_lo, v6, v2, vcc_lo
	s_waitcnt lgkmcnt(0)
	s_delay_alu instid0(VALU_DEP_2) | instskip(NEXT) | instid1(VALU_DEP_2)
	v_mul_lo_u32 v10, s3, v9
	v_mul_lo_u32 v2, s2, v2
	v_mad_u64_u32 v[5:6], null, s2, v9, v[3:4]
	v_cmp_ge_u64_e64 s2, s[16:17], s[6:7]
	s_delay_alu instid0(VALU_DEP_1) | instskip(NEXT) | instid1(VALU_DEP_2)
	s_and_b32 vcc_lo, exec_lo, s2
	v_add3_u32 v4, v10, v6, v2
	s_delay_alu instid0(VALU_DEP_3)
	v_mov_b32_e32 v3, v5
	s_cbranch_vccnz .LBB0_9
; %bb.7:                                ;   in Loop: Header=BB0_2 Depth=1
	v_dual_mov_b32 v5, v7 :: v_dual_mov_b32 v6, v8
	s_branch .LBB0_2
.LBB0_8:
	v_dual_mov_b32 v8, v6 :: v_dual_mov_b32 v7, v5
.LBB0_9:
	s_lshl_b64 s[2:3], s[6:7], 3
	v_mul_hi_u32 v5, 0x1818182, v0
	s_add_u32 s2, s10, s2
	s_addc_u32 s3, s11, s3
	s_load_b64 s[2:3], s[2:3], 0x0
	s_load_b64 s[0:1], s[0:1], 0x20
	s_waitcnt lgkmcnt(0)
	v_mul_lo_u32 v6, s2, v8
	v_mul_lo_u32 v9, s3, v7
	v_mad_u64_u32 v[1:2], null, s2, v7, v[3:4]
	v_mul_u32_u24_e32 v3, 0xaa, v5
	v_cmp_gt_u64_e32 vcc_lo, s[0:1], v[7:8]
	s_delay_alu instid0(VALU_DEP_2) | instskip(NEXT) | instid1(VALU_DEP_4)
	v_sub_nc_u32_e32 v32, v0, v3
	v_add3_u32 v2, v9, v2, v6
	s_delay_alu instid0(VALU_DEP_2) | instskip(NEXT) | instid1(VALU_DEP_2)
	v_lshl_add_u32 v38, v32, 3, 0
	v_lshlrev_b64 v[34:35], 3, v[1:2]
	s_and_saveexec_b32 s1, vcc_lo
	s_cbranch_execz .LBB0_11
; %bb.10:
	s_delay_alu instid0(VALU_DEP_2) | instskip(NEXT) | instid1(VALU_DEP_2)
	v_dual_mov_b32 v33, 0 :: v_dual_add_nc_u32 v20, 0x800, v38
	v_add_co_u32 v2, s0, s8, v34
	s_delay_alu instid0(VALU_DEP_1) | instskip(NEXT) | instid1(VALU_DEP_3)
	v_add_co_ci_u32_e64 v3, s0, s9, v35, s0
	v_lshlrev_b64 v[0:1], 3, v[32:33]
	v_add_nc_u32_e32 v21, 0x1400, v38
	v_add_nc_u32_e32 v22, 0x1e00, v38
	;; [unrolled: 1-line block ×3, first 2 shown]
	s_delay_alu instid0(VALU_DEP_4) | instskip(NEXT) | instid1(VALU_DEP_1)
	v_add_co_u32 v0, s0, v2, v0
	v_add_co_ci_u32_e64 v1, s0, v3, v1, s0
	s_delay_alu instid0(VALU_DEP_2) | instskip(NEXT) | instid1(VALU_DEP_1)
	v_add_co_u32 v2, s0, 0x1000, v0
	v_add_co_ci_u32_e64 v3, s0, 0, v1, s0
	v_add_co_u32 v4, s0, 0x2000, v0
	s_delay_alu instid0(VALU_DEP_1)
	v_add_co_ci_u32_e64 v5, s0, 0, v1, s0
	s_clause 0x9
	global_load_b64 v[6:7], v[0:1], off
	global_load_b64 v[8:9], v[0:1], off offset:1360
	global_load_b64 v[10:11], v[0:1], off offset:2720
	;; [unrolled: 1-line block ×9, first 2 shown]
	s_waitcnt vmcnt(8)
	ds_store_2addr_b64 v38, v[6:7], v[8:9] offset1:170
	s_waitcnt vmcnt(6)
	ds_store_2addr_b64 v20, v[10:11], v[0:1] offset0:84 offset1:254
	s_waitcnt vmcnt(4)
	ds_store_2addr_b64 v21, v[12:13], v[14:15] offset0:40 offset1:210
	;; [unrolled: 2-line block ×4, first 2 shown]
.LBB0_11:
	s_or_b32 exec_lo, exec_lo, s1
	v_add_nc_u32_e32 v4, 0x400, v38
	v_add_nc_u32_e32 v33, 0x800, v38
	s_waitcnt lgkmcnt(0)
	s_barrier
	buffer_gl0_inv
	ds_load_2addr_b64 v[0:3], v38 offset1:100
	ds_load_2addr_b64 v[28:31], v4 offset0:72 offset1:172
	ds_load_2addr_b64 v[24:27], v33 offset0:144 offset1:244
	v_add_nc_u32_e32 v4, 0x1000, v38
	v_add_nc_u32_e32 v5, 0x1800, v38
	v_add_nc_u32_e32 v6, 0x1c00, v38
	v_add_nc_u32_e32 v7, 0x2400, v38
	v_add_nc_u32_e32 v39, 0x2800, v38
	ds_load_2addr_b64 v[20:23], v4 offset0:88 offset1:188
	ds_load_2addr_b64 v[16:19], v5 offset0:32 offset1:132
	;; [unrolled: 1-line block ×5, first 2 shown]
	ds_load_b64 v[36:37], v38 offset:12800
	s_mov_b32 s1, exec_lo
	s_waitcnt lgkmcnt(0)
	s_barrier
	buffer_gl0_inv
	v_cmpx_gt_u32_e32 0x64, v32
	s_cbranch_execz .LBB0_13
; %bb.12:
	v_dual_sub_f32 v75, v2, v36 :: v_dual_sub_f32 v74, v28, v6
	v_dual_add_f32 v45, v37, v3 :: v_dual_add_f32 v44, v7, v29
	v_dual_sub_f32 v72, v30, v4 :: v_dual_add_f32 v43, v5, v31
	s_delay_alu instid0(VALU_DEP_3) | instskip(NEXT) | instid1(VALU_DEP_4)
	v_dual_mul_f32 v62, 0xbe3c28d5, v75 :: v_dual_sub_f32 v71, v26, v8
	v_dual_mul_f32 v56, 0x3eb8f4ab, v74 :: v_dual_sub_f32 v79, v29, v7
	v_dual_sub_f32 v70, v24, v10 :: v_dual_add_f32 v41, v9, v27
	s_delay_alu instid0(VALU_DEP_3) | instskip(SKIP_1) | instid1(VALU_DEP_2)
	v_dual_fmamk_f32 v42, v45, 0xbf7ba420, v62 :: v_dual_sub_f32 v73, v20, v14
	v_dual_add_f32 v40, v11, v25 :: v_dual_mul_f32 v57, 0xbf06c442, v72
	v_dual_fmamk_f32 v46, v44, 0x3f6eb680, v56 :: v_dual_add_f32 v47, v1, v42
	s_delay_alu instid0(VALU_DEP_4) | instskip(NEXT) | instid1(VALU_DEP_3)
	v_dual_mul_f32 v58, 0x3f2c7751, v70 :: v_dual_sub_f32 v81, v25, v11
	v_fmamk_f32 v48, v43, 0xbf59a7d5, v57
	v_add_f32_e32 v42, v15, v21
	s_delay_alu instid0(VALU_DEP_3) | instskip(SKIP_1) | instid1(VALU_DEP_2)
	v_dual_add_f32 v46, v46, v47 :: v_dual_fmamk_f32 v49, v40, 0x3f3d2fb0, v58
	v_dual_sub_f32 v78, v3, v37 :: v_dual_mul_f32 v61, 0xbf4c4adb, v71
	v_dual_mul_f32 v59, 0x3f65296c, v73 :: v_dual_add_f32 v46, v48, v46
	v_add_f32_e32 v47, v36, v2
	s_delay_alu instid0(VALU_DEP_3) | instskip(NEXT) | instid1(VALU_DEP_4)
	v_dual_mul_f32 v67, 0xbe3c28d5, v78 :: v_dual_add_f32 v48, v6, v28
	v_dual_fmamk_f32 v50, v41, 0xbf1a4643, v61 :: v_dual_sub_f32 v77, v22, v12
	s_delay_alu instid0(VALU_DEP_4) | instskip(SKIP_1) | instid1(VALU_DEP_4)
	v_dual_sub_f32 v80, v31, v5 :: v_dual_fmamk_f32 v53, v42, 0x3ee437d1, v59
	v_add_f32_e32 v46, v49, v46
	v_fma_f32 v49, 0xbf7ba420, v47, -v67
	v_mul_f32_e32 v65, 0x3f2c7751, v81
	s_delay_alu instid0(VALU_DEP_4) | instskip(NEXT) | instid1(VALU_DEP_4)
	v_dual_mul_f32 v69, 0xbf06c442, v80 :: v_dual_sub_f32 v82, v27, v9
	v_add_f32_e32 v52, v50, v46
	s_delay_alu instid0(VALU_DEP_4) | instskip(SKIP_2) | instid1(VALU_DEP_4)
	v_add_f32_e32 v46, v0, v49
	v_dual_add_f32 v49, v4, v30 :: v_dual_sub_f32 v84, v23, v13
	v_mul_f32_e32 v87, 0x3f65296c, v74
	v_dual_add_f32 v53, v53, v52 :: v_dual_mul_f32 v68, 0x3eb8f4ab, v79
	s_delay_alu instid0(VALU_DEP_3) | instskip(SKIP_2) | instid1(VALU_DEP_4)
	v_fma_f32 v54, 0xbf59a7d5, v49, -v69
	v_dual_add_f32 v52, v14, v20 :: v_dual_add_f32 v3, v1, v3
	v_mul_f32_e32 v55, 0xbf763a35, v77
	v_fma_f32 v50, 0x3f6eb680, v48, -v68
	v_add_f32_e32 v2, v0, v2
	v_mul_f32_e32 v115, 0xbf763a35, v78
	v_dual_mul_f32 v121, 0xbf65296c, v70 :: v_dual_mul_f32 v112, 0xbf65296c, v81
	s_delay_alu instid0(VALU_DEP_4) | instskip(SKIP_3) | instid1(VALU_DEP_4)
	v_add_f32_e32 v51, v50, v46
	v_dual_add_f32 v50, v10, v24 :: v_dual_sub_f32 v83, v21, v15
	v_mul_f32_e32 v122, 0xbe3c28d5, v71
	v_mul_f32_e32 v141, 0xbe3c28d5, v79
	v_add_f32_e32 v54, v54, v51
	s_delay_alu instid0(VALU_DEP_4)
	v_fma_f32 v60, 0x3f3d2fb0, v50, -v65
	v_add_f32_e32 v51, v8, v26
	v_mul_f32_e32 v66, 0xbf4c4adb, v82
	v_sub_f32_e32 v76, v16, v18
	v_mul_f32_e32 v104, 0xbe3c28d5, v82
	v_add_f32_e32 v54, v60, v54
	v_mul_f32_e32 v102, 0xbeb8f4ab, v84
	v_fma_f32 v60, 0xbf1a4643, v51, -v66
	v_dual_add_f32 v46, v13, v23 :: v_dual_add_f32 v3, v3, v29
	v_mul_f32_e32 v144, 0xbe3c28d5, v74
	v_dual_mul_f32 v140, 0xbf7ee86f, v78 :: v_dual_mul_f32 v133, 0xbf7ee86f, v77
	s_delay_alu instid0(VALU_DEP_4) | instskip(NEXT) | instid1(VALU_DEP_4)
	v_dual_add_f32 v85, v60, v54 :: v_dual_mul_f32 v64, 0x3f65296c, v83
	v_fmamk_f32 v63, v46, 0xbe8c1d8e, v55
	v_mul_f32_e32 v60, 0x3f7ee86f, v76
	v_dual_mul_f32 v148, 0x3f763a35, v72 :: v_dual_mul_f32 v145, 0x3f763a35, v70
	s_delay_alu instid0(VALU_DEP_4) | instskip(SKIP_2) | instid1(VALU_DEP_3)
	v_fma_f32 v86, 0x3ee437d1, v52, -v64
	v_dual_mul_f32 v142, 0x3f763a35, v80 :: v_dual_mul_f32 v135, 0x3f763a35, v81
	v_dual_mul_f32 v150, 0xbf65296c, v71 :: v_dual_mul_f32 v155, 0xbf65296c, v78
	v_dual_add_f32 v89, v86, v85 :: v_dual_mul_f32 v86, 0xbf06c442, v75
	v_dual_add_f32 v88, v63, v53 :: v_dual_mul_f32 v63, 0xbf763a35, v84
	v_dual_add_f32 v53, v19, v17 :: v_dual_sub_f32 v108, v17, v19
	s_delay_alu instid0(VALU_DEP_3) | instskip(SKIP_1) | instid1(VALU_DEP_3)
	v_dual_add_f32 v54, v12, v22 :: v_dual_fmamk_f32 v85, v45, 0xbf59a7d5, v86
	v_add_f32_e32 v93, v3, v31
	v_fmamk_f32 v3, v53, 0x3dbcf732, v60
	s_delay_alu instid0(VALU_DEP_4) | instskip(NEXT) | instid1(VALU_DEP_4)
	v_mul_f32_e32 v29, 0x3f7ee86f, v108
	v_fma_f32 v90, 0xbe8c1d8e, v54, -v63
	v_dual_add_f32 v91, v1, v85 :: v_dual_fmamk_f32 v92, v44, 0x3ee437d1, v87
	s_delay_alu instid0(VALU_DEP_4) | instskip(SKIP_4) | instid1(VALU_DEP_3)
	v_add_f32_e32 v3, v3, v88
	v_mul_f32_e32 v85, 0xbf7ee86f, v72
	v_add_f32_e32 v2, v2, v28
	v_add_f32_e32 v28, v18, v16
	v_dual_add_f32 v89, v90, v89 :: v_dual_add_f32 v90, v92, v91
	v_dual_fmamk_f32 v91, v43, 0x3dbcf732, v85 :: v_dual_add_f32 v94, v2, v30
	v_add_f32_e32 v25, v93, v25
	s_delay_alu instid0(VALU_DEP_4)
	v_fma_f32 v92, 0x3dbcf732, v28, -v29
	v_mul_f32_e32 v31, 0x3f4c4adb, v70
	v_mul_f32_e32 v30, 0xbeb8f4ab, v71
	v_add_f32_e32 v88, v91, v90
	v_dual_add_f32 v24, v94, v24 :: v_dual_mul_f32 v91, 0x3f65296c, v79
	v_add_f32_e32 v2, v92, v89
	v_dual_fmamk_f32 v90, v40, 0xbf1a4643, v31 :: v_dual_add_f32 v25, v25, v27
	s_delay_alu instid0(VALU_DEP_3) | instskip(SKIP_2) | instid1(VALU_DEP_4)
	v_add_f32_e32 v26, v24, v26
	v_mul_f32_e32 v24, 0xbe3c28d5, v73
	v_mul_f32_e32 v97, 0x3f4c4adb, v81
	v_dual_mul_f32 v100, 0x3f65296c, v108 :: v_dual_add_f32 v21, v25, v21
	v_dual_fmamk_f32 v89, v41, 0x3f6eb680, v30 :: v_dual_add_f32 v88, v90, v88
	v_mul_f32_e32 v120, 0xbf65296c, v82
	v_dual_mul_f32 v114, 0xbf06c442, v83 :: v_dual_mul_f32 v157, 0xbf06c442, v76
	s_delay_alu instid0(VALU_DEP_4) | instskip(NEXT) | instid1(VALU_DEP_4)
	v_add_f32_e32 v21, v21, v23
	v_dual_add_f32 v88, v89, v88 :: v_dual_fmamk_f32 v89, v42, 0xbf7ba420, v24
	v_dual_mul_f32 v90, 0xbf06c442, v78 :: v_dual_add_f32 v25, v26, v20
	s_delay_alu instid0(VALU_DEP_3) | instskip(SKIP_2) | instid1(VALU_DEP_4)
	v_add_f32_e32 v17, v21, v17
	v_mul_f32_e32 v21, 0xbe3c28d5, v83
	v_mul_f32_e32 v154, 0xbf65296c, v75
	v_fma_f32 v27, 0xbf59a7d5, v47, -v90
	v_add_f32_e32 v22, v25, v22
	v_mul_f32_e32 v25, 0xbeb8f4ab, v82
	v_dual_mul_f32 v156, 0xbf4c4adb, v74 :: v_dual_mul_f32 v161, 0xbf4c4adb, v72
	s_delay_alu instid0(VALU_DEP_4) | instskip(SKIP_3) | instid1(VALU_DEP_3)
	v_add_f32_e32 v26, v0, v27
	v_fma_f32 v27, 0x3ee437d1, v48, -v91
	v_dual_add_f32 v16, v22, v16 :: v_dual_add_f32 v17, v17, v19
	v_mul_f32_e32 v19, 0xbf763a35, v76
	v_dual_mul_f32 v158, 0x3e3c28d5, v72 :: v_dual_add_f32 v23, v27, v26
	v_mul_f32_e32 v94, 0xbf7ee86f, v80
	v_dual_add_f32 v27, v89, v88 :: v_dual_mul_f32 v20, 0x3f2c7751, v77
	v_dual_add_f32 v16, v16, v18 :: v_dual_add_f32 v13, v17, v13
	s_delay_alu instid0(VALU_DEP_3) | instskip(SKIP_1) | instid1(VALU_DEP_4)
	v_fma_f32 v26, 0x3dbcf732, v49, -v94
	v_mul_f32_e32 v96, 0x3f763a35, v74
	v_fmamk_f32 v88, v46, 0x3f3d2fb0, v20
	v_mul_f32_e32 v111, 0xbeb8f4ab, v80
	v_add_f32_e32 v13, v13, v15
	v_add_f32_e32 v23, v26, v23
	v_fma_f32 v26, 0xbf1a4643, v50, -v97
	v_add_f32_e32 v27, v88, v27
	s_delay_alu instid0(VALU_DEP_4) | instskip(SKIP_1) | instid1(VALU_DEP_4)
	v_dual_mul_f32 v134, 0xbf4c4adb, v79 :: v_dual_add_f32 v9, v13, v9
	v_dual_mul_f32 v107, 0x3f2c7751, v108 :: v_dual_mul_f32 v136, 0x3f2c7751, v82
	v_add_f32_e32 v22, v26, v23
	v_fma_f32 v23, 0x3f6eb680, v51, -v25
	v_mul_f32_e32 v95, 0xbf4c4adb, v75
	v_dual_add_f32 v11, v9, v11 :: v_dual_mul_f32 v26, 0xbf06c442, v70
	s_delay_alu instid0(VALU_DEP_3) | instskip(NEXT) | instid1(VALU_DEP_3)
	v_dual_fmamk_f32 v9, v53, 0xbe8c1d8e, v19 :: v_dual_add_f32 v18, v23, v22
	v_dual_add_f32 v12, v16, v12 :: v_dual_fmamk_f32 v17, v45, 0xbf1a4643, v95
	v_fma_f32 v16, 0xbf7ba420, v52, -v21
	s_delay_alu instid0(VALU_DEP_4) | instskip(NEXT) | instid1(VALU_DEP_3)
	v_dual_mul_f32 v22, 0x3f2c7751, v84 :: v_dual_add_f32 v5, v11, v5
	v_dual_add_f32 v12, v12, v14 :: v_dual_add_f32 v15, v1, v17
	s_delay_alu instid0(VALU_DEP_3) | instskip(SKIP_1) | instid1(VALU_DEP_4)
	v_add_f32_e32 v14, v16, v18
	v_fmamk_f32 v16, v44, 0xbe8c1d8e, v96
	v_fma_f32 v17, 0x3f3d2fb0, v54, -v22
	s_delay_alu instid0(VALU_DEP_4)
	v_add_f32_e32 v8, v12, v8
	v_mul_f32_e32 v88, 0xbeb8f4ab, v72
	v_dual_mul_f32 v18, 0xbf763a35, v108 :: v_dual_add_f32 v9, v9, v27
	v_add_f32_e32 v12, v16, v15
	v_dual_mul_f32 v106, 0xbf4c4adb, v78 :: v_dual_add_f32 v5, v5, v7
	v_add_f32_e32 v13, v17, v14
	s_delay_alu instid0(VALU_DEP_4) | instskip(SKIP_1) | instid1(VALU_DEP_4)
	v_fma_f32 v14, 0xbe8c1d8e, v28, -v18
	v_mul_f32_e32 v110, 0x3f763a35, v79
	v_fma_f32 v16, 0xbf1a4643, v47, -v106
	v_add_f32_e32 v5, v5, v37
	v_fma_f32 v11, 0x3f6eb680, v49, -v111
	v_mul_f32_e32 v92, 0x3f7ee86f, v71
	v_add_f32_e32 v10, v8, v10
	v_fmamk_f32 v8, v43, 0x3f6eb680, v88
	v_fmamk_f32 v15, v40, 0xbf59a7d5, v26
	v_mul_f32_e32 v99, 0xbf06c442, v81
	v_mul_f32_e32 v101, 0x3f7ee86f, v82
	s_delay_alu instid0(VALU_DEP_4) | instskip(SKIP_2) | instid1(VALU_DEP_3)
	v_dual_mul_f32 v89, 0xbf2c7751, v83 :: v_dual_add_f32 v12, v8, v12
	v_dual_add_f32 v8, v14, v13 :: v_dual_add_f32 v13, v0, v16
	v_fma_f32 v14, 0xbe8c1d8e, v48, -v110
	v_dual_mul_f32 v103, 0xbf2c7751, v73 :: v_dual_add_f32 v12, v15, v12
	v_dual_fmamk_f32 v15, v41, 0x3dbcf732, v92 :: v_dual_add_f32 v4, v10, v4
	s_delay_alu instid0(VALU_DEP_3) | instskip(SKIP_3) | instid1(VALU_DEP_4)
	v_add_f32_e32 v10, v14, v13
	v_fma_f32 v14, 0x3ee437d1, v28, -v100
	v_mul_f32_e32 v93, 0xbf4c4adb, v76
	v_mul_f32_e32 v37, 0x3f2c7751, v76
	v_dual_mul_f32 v132, 0xbeb8f4ab, v73 :: v_dual_add_f32 v7, v11, v10
	v_fma_f32 v10, 0xbf59a7d5, v50, -v99
	s_delay_alu instid0(VALU_DEP_4) | instskip(SKIP_2) | instid1(VALU_DEP_4)
	v_dual_add_f32 v12, v15, v12 :: v_dual_fmamk_f32 v15, v53, 0xbf1a4643, v93
	v_mul_f32_e32 v146, 0x3f2c7751, v72
	v_fmamk_f32 v17, v53, 0x3f3d2fb0, v37
	v_add_f32_e32 v7, v10, v7
	v_fma_f32 v10, 0x3dbcf732, v51, -v101
	v_mul_f32_e32 v98, 0xbe3c28d5, v77
	v_mul_f32_e32 v116, 0x3f06c442, v79
	;; [unrolled: 1-line block ×3, first 2 shown]
	v_fma_f32 v124, 0x3f3d2fb0, v28, -v107
	v_dual_add_f32 v7, v10, v7 :: v_dual_add_f32 v4, v4, v6
	v_fmamk_f32 v11, v46, 0xbf7ba420, v98
	v_fmamk_f32 v6, v42, 0x3f3d2fb0, v103
	v_fma_f32 v10, 0x3f3d2fb0, v52, -v89
	v_fma_f32 v13, 0xbf59a7d5, v48, -v116
	v_add_f32_e32 v4, v4, v36
	v_mul_f32_e32 v36, 0x3f4c4adb, v84
	v_mul_f32_e32 v138, 0xbeb8f4ab, v83
	v_add_f32_e32 v7, v10, v7
	v_mul_f32_e32 v23, 0x3f65296c, v76
	v_add_f32_e32 v6, v6, v12
	v_mul_f32_e32 v27, 0xbe3c28d5, v84
	v_mul_f32_e32 v152, 0xbf7ee86f, v84
	;; [unrolled: 1-line block ×4, first 2 shown]
	v_add_f32_e32 v6, v11, v6
	v_fma_f32 v10, 0xbf7ba420, v54, -v27
	v_fma_f32 v62, 0xbf7ba420, v45, -v62
	v_fmamk_f32 v126, v44, 0x3dbcf732, v160
	v_fmac_f32_e32 v67, 0xbf7ba420, v47
	v_fma_f32 v56, 0x3f6eb680, v44, -v56
	v_add_f32_e32 v10, v10, v7
	v_add_f32_e32 v62, v1, v62
	v_fmamk_f32 v11, v53, 0x3ee437d1, v23
	v_mul_f32_e32 v118, 0xbf763a35, v75
	v_mul_f32_e32 v109, 0xbf4c4adb, v108
	v_fmac_f32_e32 v68, 0x3f6eb680, v48
	v_mul_f32_e32 v143, 0x3eb8f4ab, v81
	s_delay_alu instid0(VALU_DEP_4)
	v_dual_add_f32 v7, v11, v6 :: v_dual_fmamk_f32 v12, v45, 0xbe8c1d8e, v118
	v_mul_f32_e32 v119, 0x3f06c442, v74
	v_fma_f32 v16, 0xbf1a4643, v28, -v109
	v_mul_f32_e32 v74, 0xbf2c7751, v74
	v_dual_add_f32 v56, v56, v62 :: v_dual_fmac_f32 v69, 0xbf59a7d5, v49
	v_add_f32_e32 v6, v1, v12
	v_fma_f32 v12, 0xbe8c1d8e, v47, -v115
	v_mul_f32_e32 v151, 0xbf06c442, v73
	v_fma_f32 v57, 0xbf59a7d5, v43, -v57
	v_mul_f32_e32 v168, 0x3eb8f4ab, v76
	v_fma_f32 v58, 0x3f3d2fb0, v40, -v58
	v_add_f32_e32 v12, v0, v12
	s_delay_alu instid0(VALU_DEP_4) | instskip(SKIP_2) | instid1(VALU_DEP_4)
	v_dual_fmamk_f32 v11, v44, 0xbf59a7d5, v119 :: v_dual_add_f32 v56, v57, v56
	v_fmac_f32_e32 v65, 0x3f3d2fb0, v50
	v_mul_f32_e32 v166, 0x3f65296c, v77
	v_add_f32_e32 v12, v13, v12
	s_delay_alu instid0(VALU_DEP_4) | instskip(SKIP_3) | instid1(VALU_DEP_3)
	v_add_f32_e32 v6, v11, v6
	v_fmamk_f32 v11, v43, 0x3f3d2fb0, v146
	v_fma_f32 v13, 0x3f3d2fb0, v49, -v117
	v_dual_mul_f32 v123, 0x3f7ee86f, v73 :: v_dual_add_f32 v58, v58, v56
	v_dual_fmac_f32 v111, 0x3f6eb680, v49 :: v_dual_add_f32 v6, v11, v6
	s_delay_alu instid0(VALU_DEP_3) | instskip(SKIP_2) | instid1(VALU_DEP_3)
	v_dual_fmamk_f32 v11, v40, 0x3ee437d1, v121 :: v_dual_add_f32 v12, v13, v12
	v_fma_f32 v13, 0x3ee437d1, v50, -v112
	v_mul_f32_e32 v113, 0xbeb8f4ab, v77
	v_dual_mul_f32 v147, 0x3f2c7751, v71 :: v_dual_add_f32 v6, v11, v6
	v_fmamk_f32 v11, v41, 0xbf7ba420, v122
	s_delay_alu instid0(VALU_DEP_4) | instskip(SKIP_4) | instid1(VALU_DEP_4)
	v_add_f32_e32 v12, v13, v12
	v_fma_f32 v13, 0xbf7ba420, v51, -v104
	v_fma_f32 v61, 0xbf1a4643, v41, -v61
	v_mul_f32_e32 v72, 0xbf65296c, v72
	v_dual_add_f32 v6, v11, v6 :: v_dual_fmamk_f32 v11, v42, 0x3dbcf732, v123
	v_dual_mul_f32 v105, 0x3f7ee86f, v83 :: v_dual_add_f32 v12, v13, v12
	v_fmac_f32_e32 v66, 0xbf1a4643, v51
	v_dual_add_f32 v58, v61, v58 :: v_dual_fmac_f32 v91, 0x3ee437d1, v48
	s_delay_alu instid0(VALU_DEP_4) | instskip(NEXT) | instid1(VALU_DEP_4)
	v_dual_add_f32 v6, v11, v6 :: v_dual_fmamk_f32 v11, v46, 0x3f6eb680, v113
	v_fma_f32 v13, 0x3dbcf732, v52, -v105
	v_mul_f32_e32 v139, 0xbf7ee86f, v75
	v_fmamk_f32 v125, v46, 0x3dbcf732, v133
	v_mul_f32_e32 v159, 0xbf2c7751, v75
	s_delay_alu instid0(VALU_DEP_4) | instskip(SKIP_4) | instid1(VALU_DEP_4)
	v_dual_add_f32 v11, v11, v6 :: v_dual_add_f32 v12, v13, v12
	v_fma_f32 v13, 0x3f6eb680, v54, -v102
	v_add_f32_e32 v6, v14, v10
	v_fmamk_f32 v10, v45, 0x3dbcf732, v139
	v_fma_f32 v14, 0x3dbcf732, v47, -v140
	v_dual_mul_f32 v75, 0xbeb8f4ab, v75 :: v_dual_add_f32 v12, v13, v12
	s_delay_alu instid0(VALU_DEP_3) | instskip(SKIP_1) | instid1(VALU_DEP_4)
	v_dual_fmamk_f32 v13, v44, 0xbf7ba420, v144 :: v_dual_add_f32 v10, v1, v10
	v_mul_f32_e32 v149, 0x3eb8f4ab, v70
	v_dual_add_f32 v14, v0, v14 :: v_dual_add_f32 v11, v15, v11
	v_fma_f32 v15, 0xbf7ba420, v48, -v141
	s_delay_alu instid0(VALU_DEP_4) | instskip(SKIP_1) | instid1(VALU_DEP_3)
	v_dual_add_f32 v10, v13, v10 :: v_dual_fmamk_f32 v13, v43, 0xbe8c1d8e, v148
	v_fmamk_f32 v129, v43, 0xbf1a4643, v161
	v_dual_mul_f32 v153, 0xbf06c442, v108 :: v_dual_add_f32 v14, v15, v14
	v_fma_f32 v15, 0xbe8c1d8e, v49, -v142
	s_delay_alu instid0(VALU_DEP_4) | instskip(NEXT) | instid1(VALU_DEP_3)
	v_dual_add_f32 v10, v13, v10 :: v_dual_fmamk_f32 v13, v40, 0x3f6eb680, v149
	v_fma_f32 v128, 0xbf59a7d5, v28, -v153
	v_fma_f32 v31, 0xbf1a4643, v40, -v31
	s_delay_alu instid0(VALU_DEP_4) | instskip(SKIP_4) | instid1(VALU_DEP_4)
	v_add_f32_e32 v14, v15, v14
	v_fma_f32 v15, 0x3f6eb680, v50, -v143
	v_add_f32_e32 v10, v13, v10
	v_fmamk_f32 v13, v41, 0x3ee437d1, v150
	v_mul_f32_e32 v131, 0x3f4c4adb, v77
	v_dual_fmamk_f32 v169, v44, 0x3f3d2fb0, v74 :: v_dual_add_f32 v14, v15, v14
	v_fma_f32 v15, 0x3ee437d1, v51, -v120
	s_delay_alu instid0(VALU_DEP_4) | instskip(SKIP_2) | instid1(VALU_DEP_4)
	v_dual_add_f32 v10, v13, v10 :: v_dual_fmamk_f32 v13, v42, 0xbf59a7d5, v151
	v_mul_f32_e32 v163, 0x3f06c442, v71
	v_fma_f32 v59, 0x3ee437d1, v42, -v59
	v_add_f32_e32 v14, v15, v14
	v_fma_f32 v15, 0xbf59a7d5, v52, -v114
	v_dual_add_f32 v10, v13, v10 :: v_dual_fmamk_f32 v13, v46, 0xbf1a4643, v131
	v_mul_f32_e32 v165, 0x3f763a35, v73
	s_delay_alu instid0(VALU_DEP_3) | instskip(SKIP_1) | instid1(VALU_DEP_4)
	v_dual_mul_f32 v73, 0xbf4c4adb, v73 :: v_dual_add_f32 v14, v15, v14
	v_fma_f32 v15, 0xbf1a4643, v54, -v36
	v_dual_add_f32 v13, v13, v10 :: v_dual_add_f32 v10, v16, v12
	v_fmamk_f32 v12, v45, 0x3ee437d1, v154
	v_fma_f32 v16, 0x3ee437d1, v47, -v155
	s_delay_alu instid0(VALU_DEP_4) | instskip(NEXT) | instid1(VALU_DEP_4)
	v_dual_add_f32 v14, v15, v14 :: v_dual_fmamk_f32 v15, v44, 0xbf1a4643, v156
	v_add_f32_e32 v13, v17, v13
	s_delay_alu instid0(VALU_DEP_4) | instskip(NEXT) | instid1(VALU_DEP_4)
	v_add_f32_e32 v12, v1, v12
	v_add_f32_e32 v16, v0, v16
	v_fma_f32 v17, 0xbf1a4643, v48, -v134
	v_mul_f32_e32 v137, 0x3e3c28d5, v80
	v_dual_fmamk_f32 v164, v41, 0xbf59a7d5, v163 :: v_dual_add_f32 v67, v0, v67
	v_add_f32_e32 v12, v15, v12
	s_delay_alu instid0(VALU_DEP_4) | instskip(SKIP_1) | instid1(VALU_DEP_2)
	v_dual_fmamk_f32 v15, v43, 0xbf7ba420, v158 :: v_dual_add_f32 v16, v17, v16
	v_dual_fmac_f32 v110, 0xbe8c1d8e, v48 :: v_dual_fmac_f32 v115, 0xbe8c1d8e, v47
	v_dual_add_f32 v67, v68, v67 :: v_dual_add_f32 v12, v15, v12
	v_fmamk_f32 v15, v40, 0xbe8c1d8e, v145
	v_fmac_f32_e32 v64, 0x3ee437d1, v52
	v_dual_add_f32 v58, v59, v58 :: v_dual_fmac_f32 v21, 0xbf7ba420, v52
	s_delay_alu instid0(VALU_DEP_3) | instskip(SKIP_3) | instid1(VALU_DEP_4)
	v_dual_add_f32 v67, v69, v67 :: v_dual_add_f32 v12, v15, v12
	v_fmamk_f32 v15, v41, 0x3f3d2fb0, v147
	v_fma_f32 v69, 0xbf59a7d5, v45, -v86
	v_mul_f32_e32 v71, 0xbf763a35, v71
	v_add_f32_e32 v65, v65, v67
	v_fma_f32 v67, 0x3ee437d1, v44, -v87
	v_dual_add_f32 v12, v15, v12 :: v_dual_fmamk_f32 v15, v42, 0x3f6eb680, v132
	v_add_f32_e32 v61, v1, v69
	s_delay_alu instid0(VALU_DEP_4)
	v_add_f32_e32 v65, v66, v65
	v_fma_f32 v66, 0x3dbcf732, v43, -v85
	v_fma_f32 v55, 0xbe8c1d8e, v46, -v55
	v_dual_add_f32 v15, v15, v12 :: v_dual_add_f32 v12, v124, v14
	v_fma_f32 v17, 0xbf7ba420, v49, -v137
	v_dual_mul_f32 v124, 0xbf2c7751, v78 :: v_dual_add_f32 v61, v67, v61
	s_delay_alu instid0(VALU_DEP_3) | instskip(NEXT) | instid1(VALU_DEP_3)
	v_add_f32_e32 v14, v125, v15
	v_dual_mul_f32 v125, 0xbf7ee86f, v79 :: v_dual_add_f32 v16, v17, v16
	v_fma_f32 v17, 0xbe8c1d8e, v50, -v135
	v_mul_f32_e32 v79, 0xbf2c7751, v79
	v_fma_f32 v127, 0x3f3d2fb0, v47, -v124
	s_delay_alu instid0(VALU_DEP_4) | instskip(NEXT) | instid1(VALU_DEP_4)
	v_fma_f32 v130, 0x3dbcf732, v48, -v125
	v_dual_add_f32 v61, v66, v61 :: v_dual_add_f32 v16, v17, v16
	v_fma_f32 v17, 0x3f3d2fb0, v51, -v136
	s_delay_alu instid0(VALU_DEP_4) | instskip(SKIP_1) | instid1(VALU_DEP_3)
	v_dual_add_f32 v127, v0, v127 :: v_dual_mul_f32 v78, 0xbeb8f4ab, v78
	v_dual_add_f32 v59, v64, v65 :: v_dual_mul_f32 v170, 0xbf7ee86f, v70
	v_dual_add_f32 v31, v31, v61 :: v_dual_add_f32 v16, v17, v16
	v_fma_f32 v17, 0x3f6eb680, v52, -v138
	v_fma_f32 v70, 0x3f3d2fb0, v48, -v79
	v_add_f32_e32 v55, v55, v58
	v_fma_f32 v30, 0x3f6eb680, v41, -v30
	v_mul_f32_e32 v77, 0xbf06c442, v77
	v_add_f32_e32 v15, v17, v16
	v_fmamk_f32 v16, v45, 0x3f3d2fb0, v159
	v_fma_f32 v17, 0x3dbcf732, v54, -v152
	v_add_f32_e32 v31, v30, v31
	v_fma_f32 v24, 0xbf7ba420, v42, -v24
	v_dual_fmac_f32 v90, 0xbf59a7d5, v47 :: v_dual_fmac_f32 v99, 0xbf59a7d5, v50
	v_add_f32_e32 v16, v1, v16
	v_add_f32_e32 v17, v17, v15
	s_delay_alu instid0(VALU_DEP_4) | instskip(NEXT) | instid1(VALU_DEP_3)
	v_dual_fmamk_f32 v15, v53, 0xbf59a7d5, v157 :: v_dual_add_f32 v24, v24, v31
	v_dual_fmac_f32 v27, 0xbf7ba420, v54 :: v_dual_add_f32 v16, v126, v16
	s_delay_alu instid0(VALU_DEP_2) | instskip(NEXT) | instid1(VALU_DEP_4)
	v_dual_mul_f32 v126, 0xbf4c4adb, v80 :: v_dual_add_f32 v15, v15, v14
	v_dual_add_f32 v14, v128, v17 :: v_dual_add_f32 v17, v130, v127
	v_mul_f32_e32 v127, 0xbe3c28d5, v81
	s_delay_alu instid0(VALU_DEP_3) | instskip(SKIP_2) | instid1(VALU_DEP_4)
	v_fma_f32 v128, 0xbf1a4643, v49, -v126
	v_dual_add_f32 v16, v129, v16 :: v_dual_fmamk_f32 v129, v40, 0xbf7ba420, v162
	v_mul_f32_e32 v80, 0xbf65296c, v80
	v_fma_f32 v130, 0xbf7ba420, v50, -v127
	s_delay_alu instid0(VALU_DEP_4) | instskip(NEXT) | instid1(VALU_DEP_4)
	v_dual_add_f32 v17, v128, v17 :: v_dual_mul_f32 v128, 0x3f06c442, v82
	v_dual_add_f32 v16, v129, v16 :: v_dual_mul_f32 v129, 0x3f763a35, v83
	v_mul_f32_e32 v83, 0xbf4c4adb, v83
	s_delay_alu instid0(VALU_DEP_3) | instskip(NEXT) | instid1(VALU_DEP_4)
	v_add_f32_e32 v17, v130, v17
	v_fma_f32 v130, 0xbf59a7d5, v51, -v128
	s_delay_alu instid0(VALU_DEP_4)
	v_add_f32_e32 v16, v164, v16
	v_fmamk_f32 v164, v42, 0xbe8c1d8e, v165
	v_fma_f32 v167, 0xbe8c1d8e, v52, -v129
	v_fma_f32 v20, 0x3f3d2fb0, v46, -v20
	v_dual_add_f32 v17, v130, v17 :: v_dual_mul_f32 v130, 0x3f65296c, v84
	v_mul_f32_e32 v81, 0xbf7ee86f, v81
	v_dual_fmac_f32 v22, 0x3f3d2fb0, v54 :: v_dual_fmac_f32 v117, 0x3f3d2fb0, v49
	s_delay_alu instid0(VALU_DEP_3) | instskip(NEXT) | instid1(VALU_DEP_4)
	v_add_f32_e32 v17, v167, v17
	v_fma_f32 v167, 0x3ee437d1, v54, -v130
	v_add_f32_e32 v20, v20, v24
	v_fma_f32 v19, 0xbe8c1d8e, v53, -v19
	;; [unrolled: 2-line block ×3, first 2 shown]
	v_add_f32_e32 v167, v167, v17
	v_fmamk_f32 v17, v53, 0x3f6eb680, v168
	v_add_f32_e32 v19, v19, v20
	v_add_f32_e32 v16, v164, v16
	v_fmamk_f32 v164, v46, 0x3ee437d1, v166
	v_dual_fmac_f32 v63, 0xbe8c1d8e, v54 :: v_dual_add_f32 v64, v91, v64
	v_dual_fmac_f32 v101, 0x3dbcf732, v51 :: v_dual_fmac_f32 v94, 0x3dbcf732, v49
	s_delay_alu instid0(VALU_DEP_3) | instskip(SKIP_4) | instid1(VALU_DEP_4)
	v_add_f32_e32 v16, v164, v16
	v_fmamk_f32 v164, v45, 0x3f6eb680, v75
	v_mul_f32_e32 v82, 0xbf763a35, v82
	v_dual_fmamk_f32 v173, v46, 0xbf59a7d5, v77 :: v_dual_add_f32 v58, v63, v59
	v_fmac_f32_e32 v89, 0x3f3d2fb0, v52
	v_add_f32_e32 v164, v1, v164
	v_add_f32_e32 v17, v17, v16
	v_fma_f32 v16, 0x3f6eb680, v47, -v78
	v_add_f32_e32 v59, v94, v64
	s_delay_alu instid0(VALU_DEP_4) | instskip(NEXT) | instid1(VALU_DEP_3)
	v_dual_fmac_f32 v97, 0xbf1a4643, v50 :: v_dual_add_f32 v164, v169, v164
	v_dual_fmamk_f32 v169, v43, 0x3ee437d1, v72 :: v_dual_add_f32 v16, v0, v16
	v_fma_f32 v60, 0x3dbcf732, v53, -v60
	v_fmac_f32_e32 v29, 0x3dbcf732, v28
	v_mul_f32_e32 v84, 0xbf06c442, v84
	s_delay_alu instid0(VALU_DEP_4)
	v_dual_add_f32 v164, v169, v164 :: v_dual_fmamk_f32 v169, v40, 0x3dbcf732, v170
	v_add_f32_e32 v59, v97, v59
	v_fmac_f32_e32 v25, 0x3f6eb680, v51
	v_add_f32_e32 v30, v60, v55
	v_fma_f32 v55, 0xbf1a4643, v45, -v95
	v_add_f32_e32 v164, v169, v164
	v_dual_fmamk_f32 v169, v41, 0xbe8c1d8e, v71 :: v_dual_add_f32 v16, v70, v16
	v_fma_f32 v70, 0x3ee437d1, v49, -v80
	v_dual_mul_f32 v76, 0xbe3c28d5, v76 :: v_dual_add_f32 v25, v25, v59
	s_delay_alu instid0(VALU_DEP_3) | instskip(NEXT) | instid1(VALU_DEP_3)
	v_dual_add_f32 v164, v169, v164 :: v_dual_fmamk_f32 v169, v42, 0xbf1a4643, v73
	v_add_f32_e32 v16, v70, v16
	v_mul_f32_e32 v70, 0x3eb8f4ab, v108
	s_delay_alu instid0(VALU_DEP_4) | instskip(NEXT) | instid1(VALU_DEP_4)
	v_dual_mul_f32 v62, 0xbe3c28d5, v108 :: v_dual_add_f32 v21, v21, v25
	v_add_f32_e32 v164, v169, v164
	s_delay_alu instid0(VALU_DEP_4)
	v_add_f32_e32 v16, v171, v16
	v_fma_f32 v171, 0xbe8c1d8e, v51, -v82
	v_fma_f32 v172, 0x3f6eb680, v28, -v70
	v_add_f32_e32 v29, v29, v58
	v_add_f32_e32 v31, v1, v55
	v_fma_f32 v55, 0xbe8c1d8e, v44, -v96
	v_add_f32_e32 v169, v171, v16
	v_fma_f32 v171, 0xbf1a4643, v52, -v83
	;; [unrolled: 2-line block ×3, first 2 shown]
	v_dual_add_f32 v164, v173, v164 :: v_dual_add_f32 v25, v55, v31
	s_delay_alu instid0(VALU_DEP_4)
	v_add_f32_e32 v167, v171, v169
	v_fma_f32 v169, 0xbf59a7d5, v54, -v84
	v_fma_f32 v68, 0xbf7ba420, v28, -v62
	v_fma_f32 v31, 0x3f6eb680, v43, -v88
	v_fma_f32 v24, 0xbf59a7d5, v40, -v26
	v_dual_add_f32 v20, v1, v20 :: v_dual_fmac_f32 v143, 0x3f6eb680, v50
	v_add_f32_e32 v167, v169, v167
	v_fma_f32 v26, 0xbf59a7d5, v44, -v119
	v_dual_add_f32 v21, v22, v21 :: v_dual_fmac_f32 v116, 0xbf59a7d5, v48
	s_delay_alu instid0(VALU_DEP_3) | instskip(NEXT) | instid1(VALU_DEP_3)
	v_dual_fmac_f32 v109, 0xbf1a4643, v28 :: v_dual_add_f32 v56, v68, v167
	v_add_f32_e32 v20, v26, v20
	v_add_f32_e32 v26, v0, v115
	v_add_f32_e32 v22, v31, v25
	v_fma_f32 v23, 0x3ee437d1, v53, -v23
	v_fmac_f32_e32 v18, 0xbe8c1d8e, v28
	v_dual_fmac_f32 v105, 0x3dbcf732, v52 :: v_dual_fmac_f32 v140, 0x3dbcf732, v47
	s_delay_alu instid0(VALU_DEP_4) | instskip(SKIP_1) | instid1(VALU_DEP_4)
	v_add_f32_e32 v22, v24, v22
	v_fma_f32 v24, 0x3dbcf732, v41, -v92
	v_dual_add_f32 v18, v18, v21 :: v_dual_fmac_f32 v141, 0xbf7ba420, v48
	v_fma_f32 v31, 0xbf59a7d5, v42, -v151
	v_fmac_f32_e32 v100, 0x3ee437d1, v28
	s_delay_alu instid0(VALU_DEP_4) | instskip(SKIP_4) | instid1(VALU_DEP_4)
	v_add_f32_e32 v22, v24, v22
	v_fma_f32 v24, 0x3f3d2fb0, v42, -v103
	v_dual_fmac_f32 v112, 0x3ee437d1, v50 :: v_dual_fmac_f32 v155, 0x3ee437d1, v47
	v_fmac_f32_e32 v134, 0xbf1a4643, v48
	v_fma_f32 v58, 0x3dbcf732, v44, -v160
	v_dual_add_f32 v21, v24, v22 :: v_dual_fmac_f32 v106, 0xbf1a4643, v47
	v_fmamk_f32 v108, v53, 0xbf7ba420, v76
	v_fma_f32 v24, 0x3f3d2fb0, v43, -v146
	v_fmac_f32_e32 v142, 0xbe8c1d8e, v49
	s_delay_alu instid0(VALU_DEP_4) | instskip(SKIP_3) | instid1(VALU_DEP_4)
	v_dual_fmac_f32 v120, 0x3ee437d1, v51 :: v_dual_add_f32 v55, v0, v106
	v_fmac_f32_e32 v107, 0x3f3d2fb0, v28
	v_fmac_f32_e32 v138, 0x3f6eb680, v52
	;; [unrolled: 1-line block ×3, first 2 shown]
	v_dual_fmac_f32 v114, 0xbf59a7d5, v52 :: v_dual_add_f32 v25, v110, v55
	v_dual_fmac_f32 v104, 0xbf7ba420, v51 :: v_dual_fmac_f32 v137, 0xbf7ba420, v49
	v_fmac_f32_e32 v102, 0x3f6eb680, v54
	v_fma_f32 v55, 0xbf1a4643, v44, -v156
	s_delay_alu instid0(VALU_DEP_4)
	v_add_f32_e32 v25, v111, v25
	v_fmac_f32_e32 v135, 0xbe8c1d8e, v50
	v_fmac_f32_e32 v136, 0x3f3d2fb0, v51
	v_fmac_f32_e32 v124, 0x3f3d2fb0, v47
	v_fmac_f32_e32 v126, 0xbf1a4643, v49
	v_dual_add_f32 v25, v99, v25 :: v_dual_fmac_f32 v36, 0xbf1a4643, v54
	v_fmac_f32_e32 v125, 0x3dbcf732, v48
	v_fmac_f32_e32 v153, 0xbf59a7d5, v28
	s_delay_alu instid0(VALU_DEP_3) | instskip(SKIP_3) | instid1(VALU_DEP_4)
	v_dual_fmac_f32 v79, 0x3f3d2fb0, v48 :: v_dual_add_f32 v22, v101, v25
	v_fma_f32 v25, 0xbf7ba420, v46, -v98
	v_fmac_f32_e32 v127, 0xbf7ba420, v50
	v_dual_add_f32 v57, v108, v164 :: v_dual_fmac_f32 v78, 0x3f6eb680, v47
	v_add_f32_e32 v22, v89, v22
	s_delay_alu instid0(VALU_DEP_4)
	v_add_f32_e32 v21, v25, v21
	v_add_f32_e32 v25, v116, v26
	v_fma_f32 v26, 0x3dbcf732, v42, -v123
	v_fmac_f32_e32 v81, 0x3dbcf732, v50
	v_dual_add_f32 v22, v27, v22 :: v_dual_add_f32 v27, v0, v140
	v_add_f32_e32 v20, v24, v20
	v_fma_f32 v24, 0x3ee437d1, v40, -v121
	v_add_f32_e32 v25, v117, v25
	v_add_f32_e32 v21, v23, v21
	;; [unrolled: 1-line block ×3, first 2 shown]
	v_fma_f32 v23, 0x3dbcf732, v45, -v139
	v_add_f32_e32 v20, v24, v20
	v_fma_f32 v24, 0xbf7ba420, v41, -v122
	v_fmac_f32_e32 v80, 0x3ee437d1, v49
	v_fmac_f32_e32 v128, 0xbf59a7d5, v51
	v_add_f32_e32 v23, v1, v23
	v_fmac_f32_e32 v129, 0xbe8c1d8e, v52
	v_add_f32_e32 v24, v24, v20
	v_add_f32_e32 v20, v100, v22
	v_fmac_f32_e32 v82, 0xbe8c1d8e, v51
	v_fmac_f32_e32 v83, 0xbf1a4643, v52
	;; [unrolled: 1-line block ×3, first 2 shown]
	v_add_f32_e32 v22, v26, v24
	v_fma_f32 v26, 0x3f6eb680, v46, -v113
	v_fmac_f32_e32 v84, 0xbf59a7d5, v54
	v_fmac_f32_e32 v70, 0x3f6eb680, v28
	;; [unrolled: 1-line block ×3, first 2 shown]
	v_lshl_add_u32 v28, v32, 7, v38
	v_add_f32_e32 v22, v26, v22
	v_add_f32_e32 v26, v142, v27
	v_fma_f32 v27, 0xbf1a4643, v53, -v93
	s_delay_alu instid0(VALU_DEP_2) | instskip(NEXT) | instid1(VALU_DEP_1)
	v_add_f32_e32 v26, v143, v26
	v_add_f32_e32 v26, v120, v26
	;; [unrolled: 1-line block ×3, first 2 shown]
	v_fma_f32 v25, 0xbf7ba420, v44, -v144
	s_delay_alu instid0(VALU_DEP_1) | instskip(SKIP_1) | instid1(VALU_DEP_2)
	v_dual_add_f32 v24, v104, v24 :: v_dual_add_f32 v23, v25, v23
	v_fma_f32 v25, 0xbe8c1d8e, v43, -v148
	v_add_f32_e32 v24, v105, v24
	s_delay_alu instid0(VALU_DEP_2) | instskip(SKIP_1) | instid1(VALU_DEP_1)
	v_add_f32_e32 v23, v25, v23
	v_fma_f32 v25, 0x3f6eb680, v40, -v149
	v_dual_add_f32 v24, v102, v24 :: v_dual_add_f32 v23, v25, v23
	v_fma_f32 v25, 0x3ee437d1, v41, -v150
	s_delay_alu instid0(VALU_DEP_1) | instskip(SKIP_3) | instid1(VALU_DEP_4)
	v_add_f32_e32 v25, v25, v23
	v_add_f32_e32 v23, v27, v22
	v_fma_f32 v22, 0x3ee437d1, v45, -v154
	v_fma_f32 v27, 0xbf1a4643, v46, -v131
	v_add_f32_e32 v25, v31, v25
	s_delay_alu instid0(VALU_DEP_3) | instskip(SKIP_1) | instid1(VALU_DEP_3)
	v_add_f32_e32 v31, v1, v22
	v_add_f32_e32 v22, v109, v24
	v_dual_add_f32 v24, v27, v25 :: v_dual_add_f32 v25, v114, v26
	s_delay_alu instid0(VALU_DEP_3)
	v_add_f32_e32 v26, v55, v31
	v_fma_f32 v27, 0xbf7ba420, v43, -v158
	v_add_f32_e32 v31, v0, v155
	v_fma_f32 v55, 0x3f3d2fb0, v45, -v159
	;; [unrolled: 2-line block ×4, first 2 shown]
	v_add_f32_e32 v31, v134, v31
	v_add_f32_e32 v55, v1, v55
	;; [unrolled: 1-line block ×3, first 2 shown]
	v_fma_f32 v24, 0xbf7ba420, v40, -v162
	v_add_f32_e32 v26, v27, v26
	v_fma_f32 v27, 0x3f3d2fb0, v41, -v147
	v_add_f32_e32 v31, v137, v31
	v_add_f32_e32 v55, v58, v55
	v_fma_f32 v58, 0xbf1a4643, v43, -v161
	v_fma_f32 v37, 0x3f6eb680, v42, -v132
	v_add_f32_e32 v26, v27, v26
	v_add_f32_e32 v27, v135, v31
	s_delay_alu instid0(VALU_DEP_4) | instskip(SKIP_1) | instid1(VALU_DEP_2)
	v_add_f32_e32 v31, v58, v55
	v_fma_f32 v58, 0x3ee437d1, v46, -v166
	v_add_f32_e32 v24, v24, v31
	v_fma_f32 v31, 0xbf59a7d5, v41, -v163
	s_delay_alu instid0(VALU_DEP_1) | instskip(SKIP_1) | instid1(VALU_DEP_1)
	v_add_f32_e32 v24, v31, v24
	v_fma_f32 v31, 0xbe8c1d8e, v42, -v165
	v_add_f32_e32 v31, v31, v24
	v_add_f32_e32 v24, v107, v36
	v_fma_f32 v36, 0x3f6eb680, v45, -v75
	s_delay_alu instid0(VALU_DEP_3) | instskip(NEXT) | instid1(VALU_DEP_2)
	v_add_f32_e32 v31, v58, v31
	v_add_f32_e32 v1, v1, v36
	v_fma_f32 v36, 0x3f3d2fb0, v44, -v74
	s_delay_alu instid0(VALU_DEP_1) | instskip(SKIP_3) | instid1(VALU_DEP_3)
	v_add_f32_e32 v1, v36, v1
	v_fma_f32 v36, 0x3ee437d1, v43, -v72
	v_add_f32_e32 v26, v37, v26
	v_fma_f32 v37, 0x3dbcf732, v46, -v133
	;; [unrolled: 2-line block ×3, first 2 shown]
	s_delay_alu instid0(VALU_DEP_3) | instskip(SKIP_1) | instid1(VALU_DEP_3)
	v_dual_add_f32 v27, v136, v27 :: v_dual_add_f32 v26, v37, v26
	v_fma_f32 v37, 0xbf59a7d5, v53, -v157
	v_add_f32_e32 v1, v36, v1
	v_fma_f32 v36, 0xbe8c1d8e, v41, -v71
	s_delay_alu instid0(VALU_DEP_4) | instskip(SKIP_1) | instid1(VALU_DEP_3)
	v_add_f32_e32 v27, v138, v27
	v_fma_f32 v41, 0xbf7ba420, v53, -v76
	v_add_f32_e32 v1, v36, v1
	v_fma_f32 v36, 0xbf1a4643, v42, -v73
	s_delay_alu instid0(VALU_DEP_4) | instskip(SKIP_2) | instid1(VALU_DEP_4)
	v_add_f32_e32 v55, v152, v27
	v_add_f32_e32 v27, v37, v26
	v_fma_f32 v37, 0x3f6eb680, v53, -v168
	v_add_f32_e32 v1, v36, v1
	v_fma_f32 v36, 0xbf59a7d5, v46, -v77
	v_add_f32_e32 v26, v153, v55
	s_delay_alu instid0(VALU_DEP_2) | instskip(NEXT) | instid1(VALU_DEP_1)
	v_dual_add_f32 v36, v36, v1 :: v_dual_add_f32 v1, v37, v31
	v_add_f32_e32 v37, v41, v36
	v_add_f32_e32 v45, v0, v124
	;; [unrolled: 1-line block ×3, first 2 shown]
	s_delay_alu instid0(VALU_DEP_2) | instskip(NEXT) | instid1(VALU_DEP_2)
	v_add_f32_e32 v44, v125, v45
	v_add_f32_e32 v0, v79, v0
	s_delay_alu instid0(VALU_DEP_2) | instskip(NEXT) | instid1(VALU_DEP_2)
	v_add_f32_e32 v43, v126, v44
	v_add_f32_e32 v0, v80, v0
	;; [unrolled: 3-line block ×7, first 2 shown]
	ds_store_2addr_b64 v28, v[4:5], v[56:57] offset1:1
	ds_store_2addr_b64 v28, v[16:17], v[14:15] offset0:2 offset1:3
	ds_store_2addr_b64 v28, v[12:13], v[10:11] offset0:4 offset1:5
	;; [unrolled: 1-line block ×7, first 2 shown]
	ds_store_b64 v28, v[36:37] offset:128
.LBB0_13:
	s_or_b32 exec_lo, exec_lo, s1
	v_and_b32_e32 v0, 0xff, v32
	s_waitcnt lgkmcnt(0)
	s_barrier
	buffer_gl0_inv
	v_mul_u32_u24_e32 v48, 9, v32
	v_mul_lo_u16 v0, 0xf1, v0
	s_add_u32 s1, s4, 0x3498
	s_addc_u32 s2, s5, 0
	s_mov_b32 s3, exec_lo
	s_delay_alu instid0(VALU_DEP_1) | instskip(NEXT) | instid1(VALU_DEP_1)
	v_lshrrev_b16 v26, 12, v0
	v_mul_lo_u16 v0, v26, 17
	s_delay_alu instid0(VALU_DEP_1) | instskip(NEXT) | instid1(VALU_DEP_1)
	v_sub_nc_u16 v0, v32, v0
	v_and_b32_e32 v36, 0xff, v0
	s_delay_alu instid0(VALU_DEP_1) | instskip(NEXT) | instid1(VALU_DEP_1)
	v_mul_u32_u24_e32 v0, 9, v36
	v_lshlrev_b32_e32 v0, 3, v0
	s_clause 0x4
	global_load_b128 v[2:5], v0, s[4:5]
	global_load_b128 v[6:9], v0, s[4:5] offset:16
	global_load_b128 v[10:13], v0, s[4:5] offset:32
	;; [unrolled: 1-line block ×3, first 2 shown]
	global_load_b64 v[30:31], v0, s[4:5] offset:64
	ds_load_2addr_b64 v[22:25], v33 offset0:84 offset1:254
	ds_load_2addr_b64 v[18:21], v38 offset1:170
	v_add_nc_u32_e32 v1, 0x1400, v38
	v_and_b32_e32 v37, 0xffff, v26
	v_add_nc_u32_e32 v0, 0x1e00, v38
	ds_load_2addr_b64 v[44:47], v39 offset0:80 offset1:250
	s_waitcnt vmcnt(4) lgkmcnt(1)
	v_mul_f32_e32 v49, v3, v20
	s_waitcnt vmcnt(3)
	v_mul_f32_e32 v50, v7, v25
	ds_load_2addr_b64 v[26:29], v1 offset0:40 offset1:210
	ds_load_2addr_b64 v[40:43], v0 offset0:60 offset1:230
	v_lshlrev_b32_e32 v36, 3, v36
	v_lshlrev_b32_e32 v48, 3, v48
	s_waitcnt vmcnt(0) lgkmcnt(0)
	s_barrier
	buffer_gl0_inv
	v_mul_f32_e32 v56, v47, v31
	v_mul_f32_e32 v52, v11, v29
	v_mul_u32_u24_e32 v37, 0x550, v37
	v_mul_f32_e32 v51, v9, v27
	v_mul_f32_e32 v9, v9, v26
	v_dual_mul_f32 v53, v41, v13 :: v_dual_mul_f32 v54, v43, v15
	s_delay_alu instid0(VALU_DEP_4) | instskip(SKIP_4) | instid1(VALU_DEP_4)
	v_add3_u32 v36, 0, v37, v36
	v_mul_f32_e32 v37, v3, v21
	v_mul_f32_e32 v3, v5, v23
	;; [unrolled: 1-line block ×4, first 2 shown]
	v_fma_f32 v20, v2, v20, -v37
	v_fmac_f32_e32 v49, v2, v21
	v_fma_f32 v2, v4, v22, -v3
	v_fmac_f32_e32 v5, v4, v23
	v_fma_f32 v4, v8, v26, -v51
	v_mul_f32_e32 v55, v45, v17
	v_mul_f32_e32 v7, v7, v24
	v_fma_f32 v3, v6, v24, -v50
	v_fmac_f32_e32 v9, v8, v27
	v_fma_f32 v8, v40, v12, -v53
	v_fmac_f32_e32 v13, v41, v12
	v_sub_f32_e32 v24, v2, v4
	v_fma_f32 v12, v44, v16, -v55
	v_mul_f32_e32 v17, v44, v17
	v_mul_f32_e32 v15, v42, v15
	v_sub_f32_e32 v37, v4, v8
	v_add_f32_e32 v44, v20, v3
	v_add_f32_e32 v26, v2, v12
	v_dual_fmac_f32 v17, v45, v16 :: v_dual_add_f32 v16, v18, v2
	v_fmac_f32_e32 v7, v6, v25
	v_fma_f32 v6, v10, v28, -v52
	s_delay_alu instid0(VALU_DEP_1) | instskip(SKIP_2) | instid1(VALU_DEP_1)
	v_sub_f32_e32 v50, v3, v6
	v_dual_sub_f32 v27, v4, v2 :: v_dual_sub_f32 v2, v2, v12
	v_dual_mul_f32 v11, v11, v28 :: v_dual_sub_f32 v22, v5, v17
	v_dual_sub_f32 v28, v8, v12 :: v_dual_fmac_f32 v11, v10, v29
	v_fma_f32 v10, v42, v14, -v54
	v_dual_add_f32 v42, v5, v17 :: v_dual_fmac_f32 v15, v43, v14
	v_sub_f32_e32 v40, v5, v9
	v_fma_f32 v14, v46, v30, -v56
	v_add_f32_e32 v21, v4, v8
	v_dual_add_f32 v4, v16, v4 :: v_dual_add_f32 v29, v19, v5
	s_delay_alu instid0(VALU_DEP_3) | instskip(SKIP_1) | instid1(VALU_DEP_3)
	v_dual_add_f32 v52, v3, v14 :: v_dual_mul_f32 v31, v46, v31
	v_dual_sub_f32 v54, v10, v14 :: v_dual_sub_f32 v41, v17, v13
	v_dual_sub_f32 v43, v13, v17 :: v_dual_add_f32 v4, v4, v8
	s_delay_alu instid0(VALU_DEP_3) | instskip(SKIP_1) | instid1(VALU_DEP_3)
	v_fmac_f32_e32 v31, v47, v30
	v_dual_sub_f32 v25, v12, v8 :: v_dual_add_f32 v30, v9, v13
	v_dual_sub_f32 v53, v6, v3 :: v_dual_add_f32 v4, v4, v12
	s_delay_alu instid0(VALU_DEP_3)
	v_dual_sub_f32 v46, v7, v31 :: v_dual_sub_f32 v23, v9, v13
	v_sub_f32_e32 v58, v7, v11
	v_sub_f32_e32 v59, v31, v15
	v_add_f32_e32 v56, v11, v15
	v_dual_add_f32 v60, v7, v31 :: v_dual_add_f32 v45, v6, v10
	v_add_f32_e32 v16, v24, v25
	v_fma_f32 v21, -0.5, v21, v18
	v_fma_f32 v18, -0.5, v26, v18
	v_add_f32_e32 v24, v27, v28
	v_dual_sub_f32 v47, v11, v15 :: v_dual_add_f32 v26, v40, v41
	v_fma_f32 v25, -0.5, v30, v19
	v_fma_f32 v19, -0.5, v42, v19
	v_add_f32_e32 v40, v58, v59
	v_sub_f32_e32 v57, v6, v10
	v_dual_add_f32 v6, v44, v6 :: v_dual_add_f32 v55, v49, v7
	v_sub_f32_e32 v5, v9, v5
	v_dual_sub_f32 v51, v14, v10 :: v_dual_fmamk_f32 v42, v23, 0xbf737871, v18
	v_sub_f32_e32 v7, v11, v7
	v_fma_f32 v27, -0.5, v45, v20
	v_fmac_f32_e32 v20, -0.5, v52
	v_fmamk_f32 v44, v37, 0x3f737871, v19
	v_fmac_f32_e32 v42, 0x3f167918, v22
	v_dual_add_f32 v6, v6, v10 :: v_dual_add_f32 v11, v55, v11
	v_dual_sub_f32 v3, v3, v14 :: v_dual_fmac_f32 v18, 0x3f737871, v23
	v_sub_f32_e32 v61, v15, v31
	v_dual_add_f32 v9, v29, v9 :: v_dual_fmamk_f32 v10, v47, 0xbf737871, v20
	s_delay_alu instid0(VALU_DEP_4) | instskip(NEXT) | instid1(VALU_DEP_3)
	v_dual_fmac_f32 v44, 0xbf167918, v2 :: v_dual_add_f32 v11, v11, v15
	v_dual_fmac_f32 v18, 0xbf167918, v22 :: v_dual_add_f32 v7, v7, v61
	v_add_f32_e32 v6, v6, v14
	v_fmamk_f32 v41, v22, 0x3f737871, v21
	s_delay_alu instid0(VALU_DEP_4)
	v_dual_fmac_f32 v10, 0x3f167918, v46 :: v_dual_add_f32 v11, v11, v31
	v_fmac_f32_e32 v42, 0x3e9e377a, v24
	v_fmac_f32_e32 v21, 0xbf737871, v22
	v_fma_f32 v30, -0.5, v56, v49
	v_dual_fmac_f32 v49, -0.5, v60 :: v_dual_add_f32 v8, v9, v13
	v_dual_add_f32 v29, v53, v54 :: v_dual_fmac_f32 v20, 0x3f737871, v47
	s_delay_alu instid0(VALU_DEP_4) | instskip(NEXT) | instid1(VALU_DEP_3)
	v_fmac_f32_e32 v21, 0xbf167918, v23
	v_dual_add_f32 v5, v5, v43 :: v_dual_add_f32 v8, v8, v17
	s_delay_alu instid0(VALU_DEP_3) | instskip(NEXT) | instid1(VALU_DEP_4)
	v_fmac_f32_e32 v10, 0x3e9e377a, v29
	v_fmac_f32_e32 v20, 0xbf167918, v46
	s_delay_alu instid0(VALU_DEP_4) | instskip(SKIP_4) | instid1(VALU_DEP_3)
	v_fmac_f32_e32 v21, 0x3e9e377a, v16
	v_fmamk_f32 v13, v3, 0xbf737871, v30
	v_dual_fmac_f32 v30, 0x3f737871, v3 :: v_dual_fmamk_f32 v15, v57, 0x3f737871, v49
	v_dual_fmac_f32 v19, 0xbf737871, v37 :: v_dual_mul_f32 v22, 0xbf737871, v10
	v_fmamk_f32 v43, v2, 0xbf737871, v25
	v_fmac_f32_e32 v30, 0x3f167918, v57
	s_delay_alu instid0(VALU_DEP_4) | instskip(NEXT) | instid1(VALU_DEP_4)
	v_fmac_f32_e32 v15, 0xbf167918, v3
	v_fmac_f32_e32 v19, 0x3f167918, v2
	;; [unrolled: 1-line block ×3, first 2 shown]
	v_add_f32_e32 v28, v50, v51
	s_delay_alu instid0(VALU_DEP_4) | instskip(SKIP_3) | instid1(VALU_DEP_4)
	v_dual_fmac_f32 v20, 0x3e9e377a, v29 :: v_dual_fmac_f32 v15, 0x3e9e377a, v7
	v_fmac_f32_e32 v25, 0x3f737871, v2
	v_dual_add_f32 v2, v4, v6 :: v_dual_fmac_f32 v41, 0x3f167918, v23
	v_sub_f32_e32 v4, v4, v6
	v_mul_f32_e32 v6, 0x3e9e377a, v20
	v_fmac_f32_e32 v18, 0x3e9e377a, v24
	s_delay_alu instid0(VALU_DEP_4) | instskip(SKIP_3) | instid1(VALU_DEP_3)
	v_dual_fmac_f32 v22, 0x3e9e377a, v15 :: v_dual_fmac_f32 v41, 0x3e9e377a, v16
	v_fmamk_f32 v9, v46, 0x3f737871, v27
	v_fmac_f32_e32 v49, 0xbf737871, v57
	v_mul_f32_e32 v16, 0x3f737871, v15
	v_fmac_f32_e32 v9, 0x3f167918, v47
	s_delay_alu instid0(VALU_DEP_3) | instskip(SKIP_1) | instid1(VALU_DEP_3)
	v_fmac_f32_e32 v49, 0x3f167918, v3
	v_fmac_f32_e32 v30, 0x3e9e377a, v40
	v_dual_fmac_f32 v16, 0x3e9e377a, v10 :: v_dual_fmac_f32 v9, 0x3e9e377a, v28
	s_delay_alu instid0(VALU_DEP_3) | instskip(NEXT) | instid1(VALU_DEP_2)
	v_fmac_f32_e32 v49, 0x3e9e377a, v7
	v_mul_f32_e32 v17, 0xbf167918, v9
	s_delay_alu instid0(VALU_DEP_2) | instskip(SKIP_1) | instid1(VALU_DEP_2)
	v_fma_f32 v23, 0x3f737871, v49, -v6
	v_fmac_f32_e32 v27, 0xbf737871, v46
	v_dual_fmac_f32 v43, 0xbf167918, v37 :: v_dual_add_f32 v10, v18, v23
	v_sub_f32_e32 v18, v18, v23
	s_delay_alu instid0(VALU_DEP_3) | instskip(NEXT) | instid1(VALU_DEP_3)
	v_fmac_f32_e32 v27, 0xbf167918, v47
	v_fmac_f32_e32 v43, 0x3e9e377a, v26
	s_delay_alu instid0(VALU_DEP_2) | instskip(NEXT) | instid1(VALU_DEP_1)
	v_fmac_f32_e32 v27, 0x3e9e377a, v28
	v_mul_f32_e32 v7, 0x3f4f1bbd, v27
	s_delay_alu instid0(VALU_DEP_1) | instskip(NEXT) | instid1(VALU_DEP_1)
	v_fma_f32 v24, 0x3f167918, v30, -v7
	v_dual_fmac_f32 v25, 0x3f167918, v37 :: v_dual_add_f32 v12, v21, v24
	v_fmac_f32_e32 v13, 0xbf167918, v57
	s_delay_alu instid0(VALU_DEP_2) | instskip(NEXT) | instid1(VALU_DEP_2)
	v_fmac_f32_e32 v25, 0x3e9e377a, v26
	v_fmac_f32_e32 v13, 0x3e9e377a, v40
	s_delay_alu instid0(VALU_DEP_1) | instskip(SKIP_3) | instid1(VALU_DEP_4)
	v_mul_f32_e32 v14, 0x3f167918, v13
	v_fmac_f32_e32 v19, 0x3e9e377a, v5
	v_add_f32_e32 v3, v8, v11
	v_dual_sub_f32 v5, v8, v11 :: v_dual_mul_f32 v8, 0x3e9e377a, v49
	v_dual_mul_f32 v11, 0x3f4f1bbd, v30 :: v_dual_fmac_f32 v14, 0x3f4f1bbd, v9
	v_fmac_f32_e32 v17, 0x3f4f1bbd, v13
	v_add_f32_e32 v9, v44, v22
	s_delay_alu instid0(VALU_DEP_4) | instskip(NEXT) | instid1(VALU_DEP_4)
	v_fma_f32 v26, 0xbf737871, v20, -v8
	v_fma_f32 v27, 0xbf167918, v27, -v11
	s_delay_alu instid0(VALU_DEP_4) | instskip(NEXT) | instid1(VALU_DEP_3)
	v_dual_add_f32 v6, v41, v14 :: v_dual_add_f32 v7, v43, v17
	v_dual_add_f32 v8, v42, v16 :: v_dual_add_f32 v11, v19, v26
	s_delay_alu instid0(VALU_DEP_3)
	v_add_f32_e32 v13, v25, v27
	v_sub_f32_e32 v14, v41, v14
	v_dual_sub_f32 v16, v42, v16 :: v_dual_sub_f32 v15, v43, v17
	v_dual_sub_f32 v17, v44, v22 :: v_dual_sub_f32 v20, v21, v24
	v_sub_f32_e32 v19, v19, v26
	v_sub_f32_e32 v21, v25, v27
	ds_store_2addr_b64 v36, v[2:3], v[6:7] offset1:17
	ds_store_2addr_b64 v36, v[8:9], v[10:11] offset0:34 offset1:51
	ds_store_2addr_b64 v36, v[12:13], v[4:5] offset0:68 offset1:85
	;; [unrolled: 1-line block ×4, first 2 shown]
	s_waitcnt lgkmcnt(0)
	s_barrier
	buffer_gl0_inv
	s_clause 0x4
	global_load_b128 v[2:5], v48, s[4:5] offset:1224
	global_load_b128 v[6:9], v48, s[4:5] offset:1240
	;; [unrolled: 1-line block ×4, first 2 shown]
	global_load_b64 v[30:31], v48, s[4:5] offset:1288
	ds_load_2addr_b64 v[18:21], v38 offset1:170
	ds_load_2addr_b64 v[22:25], v33 offset0:84 offset1:254
	ds_load_2addr_b64 v[26:29], v1 offset0:40 offset1:210
	;; [unrolled: 1-line block ×4, first 2 shown]
	s_waitcnt vmcnt(0) lgkmcnt(0)
	s_barrier
	buffer_gl0_inv
	v_mul_f32_e32 v36, v3, v21
	v_mul_f32_e32 v37, v3, v20
	;; [unrolled: 1-line block ×6, first 2 shown]
	v_fma_f32 v20, v2, v20, -v36
	v_mul_f32_e32 v53, v45, v17
	v_mul_f32_e32 v17, v44, v17
	;; [unrolled: 1-line block ×3, first 2 shown]
	v_fmac_f32_e32 v31, v47, v30
	v_mul_f32_e32 v13, v40, v13
	s_delay_alu instid0(VALU_DEP_4) | instskip(SKIP_2) | instid1(VALU_DEP_4)
	v_dual_mul_f32 v50, v11, v29 :: v_dual_fmac_f32 v17, v45, v16
	v_fmac_f32_e32 v37, v2, v21
	v_fma_f32 v2, v4, v22, -v3
	v_fmac_f32_e32 v13, v41, v12
	v_fma_f32 v3, v6, v24, -v48
	v_mul_f32_e32 v52, v43, v15
	v_mul_f32_e32 v49, v9, v27
	s_delay_alu instid0(VALU_DEP_4) | instskip(SKIP_1) | instid1(VALU_DEP_1)
	v_sub_f32_e32 v41, v17, v13
	v_mul_f32_e32 v7, v7, v24
	v_fmac_f32_e32 v7, v6, v25
	v_fma_f32 v6, v10, v28, -v50
	v_mul_f32_e32 v11, v11, v28
	v_mul_f32_e32 v5, v5, v22
	s_delay_alu instid0(VALU_DEP_3) | instskip(NEXT) | instid1(VALU_DEP_3)
	v_dual_sub_f32 v48, v3, v6 :: v_dual_mul_f32 v15, v42, v15
	v_fmac_f32_e32 v11, v10, v29
	v_fma_f32 v10, v42, v14, -v52
	s_delay_alu instid0(VALU_DEP_3)
	v_fmac_f32_e32 v15, v43, v14
	v_mul_f32_e32 v9, v9, v26
	v_fma_f32 v14, v46, v30, -v54
	v_sub_f32_e32 v46, v7, v31
	v_fmac_f32_e32 v5, v4, v23
	v_fma_f32 v4, v8, v26, -v49
	v_add_f32_e32 v54, v11, v15
	v_fmac_f32_e32 v9, v8, v27
	v_sub_f32_e32 v56, v7, v11
	v_fma_f32 v8, v40, v12, -v51
	v_fma_f32 v12, v44, v16, -v53
	v_add_f32_e32 v16, v18, v2
	v_sub_f32_e32 v24, v2, v4
	v_dual_add_f32 v44, v20, v3 :: v_dual_add_f32 v45, v6, v10
	s_delay_alu instid0(VALU_DEP_4)
	v_add_f32_e32 v26, v2, v12
	v_sub_f32_e32 v28, v8, v12
	v_add_f32_e32 v50, v3, v14
	v_sub_f32_e32 v55, v6, v10
	v_dual_sub_f32 v27, v4, v2 :: v_dual_sub_f32 v2, v2, v12
	v_dual_sub_f32 v25, v12, v8 :: v_dual_sub_f32 v22, v5, v17
	v_add_f32_e32 v21, v4, v8
	v_dual_sub_f32 v36, v4, v8 :: v_dual_sub_f32 v51, v6, v3
	v_add_f32_e32 v4, v16, v4
	s_delay_alu instid0(VALU_DEP_4)
	v_add_f32_e32 v16, v24, v25
	v_add_f32_e32 v24, v27, v28
	v_dual_sub_f32 v47, v11, v15 :: v_dual_add_f32 v6, v44, v6
	v_fma_f32 v27, -0.5, v45, v20
	v_fmac_f32_e32 v20, -0.5, v50
	v_dual_add_f32 v42, v5, v17 :: v_dual_sub_f32 v49, v14, v10
	v_sub_f32_e32 v52, v10, v14
	v_add_f32_e32 v6, v6, v10
	s_delay_alu instid0(VALU_DEP_4) | instskip(SKIP_2) | instid1(VALU_DEP_4)
	v_fmamk_f32 v10, v47, 0xbf737871, v20
	v_fmac_f32_e32 v20, 0x3f737871, v47
	v_add_f32_e32 v30, v9, v13
	v_dual_add_f32 v29, v19, v5 :: v_dual_add_f32 v6, v6, v14
	v_fma_f32 v21, -0.5, v21, v18
	v_fma_f32 v18, -0.5, v26, v18
	s_delay_alu instid0(VALU_DEP_4)
	v_fma_f32 v25, -0.5, v30, v19
	v_fma_f32 v19, -0.5, v42, v19
	v_sub_f32_e32 v23, v9, v13
	v_sub_f32_e32 v40, v5, v9
	v_dual_fmac_f32 v10, 0x3f167918, v46 :: v_dual_sub_f32 v5, v9, v5
	v_fmac_f32_e32 v20, 0xbf167918, v46
	v_fmamk_f32 v44, v36, 0x3f737871, v19
	v_fmamk_f32 v42, v23, 0xbf737871, v18
	v_dual_add_f32 v26, v40, v41 :: v_dual_fmamk_f32 v41, v22, 0x3f737871, v21
	v_dual_fmac_f32 v18, 0x3f737871, v23 :: v_dual_sub_f32 v3, v3, v14
	s_delay_alu instid0(VALU_DEP_3)
	v_dual_fmac_f32 v42, 0x3f167918, v22 :: v_dual_sub_f32 v43, v13, v17
	v_dual_add_f32 v9, v29, v9 :: v_dual_add_f32 v4, v4, v8
	v_fma_f32 v30, -0.5, v54, v37
	v_fmac_f32_e32 v41, 0x3f167918, v23
	v_fmac_f32_e32 v18, 0xbf167918, v22
	;; [unrolled: 1-line block ×4, first 2 shown]
	v_dual_add_f32 v29, v51, v52 :: v_dual_add_f32 v8, v9, v13
	v_add_f32_e32 v4, v4, v12
	v_fmac_f32_e32 v41, 0x3e9e377a, v16
	v_fmac_f32_e32 v19, 0xbf737871, v36
	;; [unrolled: 1-line block ×4, first 2 shown]
	v_fmamk_f32 v13, v3, 0xbf737871, v30
	v_fmac_f32_e32 v30, 0x3f737871, v3
	v_dual_sub_f32 v57, v31, v15 :: v_dual_fmac_f32 v44, 0xbf167918, v2
	v_fmac_f32_e32 v19, 0x3f167918, v2
	s_delay_alu instid0(VALU_DEP_4)
	v_fmac_f32_e32 v13, 0xbf167918, v55
	v_fmac_f32_e32 v21, 0x3e9e377a, v16
	v_fmamk_f32 v9, v46, 0x3f737871, v27
	v_dual_fmac_f32 v10, 0x3e9e377a, v29 :: v_dual_add_f32 v5, v5, v43
	v_fmamk_f32 v43, v2, 0xbf737871, v25
	v_fmac_f32_e32 v25, 0x3f737871, v2
	v_add_f32_e32 v2, v4, v6
	v_dual_add_f32 v40, v56, v57 :: v_dual_add_f32 v53, v37, v7
	v_fmac_f32_e32 v20, 0x3e9e377a, v29
	v_add_f32_e32 v58, v7, v31
	v_fmac_f32_e32 v9, 0x3f167918, v47
	s_delay_alu instid0(VALU_DEP_4)
	v_fmac_f32_e32 v13, 0x3e9e377a, v40
	v_mul_f32_e32 v22, 0xbf737871, v10
	v_fmac_f32_e32 v44, 0x3e9e377a, v5
	v_dual_add_f32 v28, v48, v49 :: v_dual_sub_f32 v7, v11, v7
	v_sub_f32_e32 v4, v4, v6
	v_dual_fmac_f32 v37, -0.5, v58 :: v_dual_mul_f32 v14, 0x3f167918, v13
	s_delay_alu instid0(VALU_DEP_3) | instskip(SKIP_3) | instid1(VALU_DEP_3)
	v_fmac_f32_e32 v9, 0x3e9e377a, v28
	v_add_f32_e32 v11, v53, v11
	v_dual_sub_f32 v59, v15, v31 :: v_dual_mul_f32 v6, 0x3e9e377a, v20
	v_fmac_f32_e32 v30, 0x3f167918, v55
	v_dual_fmac_f32 v14, 0x3f4f1bbd, v9 :: v_dual_add_f32 v11, v11, v15
	v_fmamk_f32 v15, v55, 0x3f737871, v37
	s_delay_alu instid0(VALU_DEP_3) | instskip(NEXT) | instid1(VALU_DEP_3)
	v_dual_add_f32 v7, v7, v59 :: v_dual_fmac_f32 v30, 0x3e9e377a, v40
	v_dual_add_f32 v8, v8, v17 :: v_dual_add_f32 v11, v11, v31
	s_delay_alu instid0(VALU_DEP_3) | instskip(SKIP_2) | instid1(VALU_DEP_4)
	v_fmac_f32_e32 v15, 0xbf167918, v3
	v_fmac_f32_e32 v19, 0x3e9e377a, v5
	v_mul_f32_e32 v17, 0xbf167918, v9
	v_sub_f32_e32 v5, v8, v11
	s_delay_alu instid0(VALU_DEP_4) | instskip(NEXT) | instid1(VALU_DEP_3)
	v_fmac_f32_e32 v15, 0x3e9e377a, v7
	v_fmac_f32_e32 v17, 0x3f4f1bbd, v13
	s_delay_alu instid0(VALU_DEP_2) | instskip(SKIP_1) | instid1(VALU_DEP_2)
	v_fmac_f32_e32 v22, 0x3e9e377a, v15
	v_fmac_f32_e32 v37, 0xbf737871, v55
	v_dual_mul_f32 v16, 0x3f737871, v15 :: v_dual_add_f32 v9, v44, v22
	s_delay_alu instid0(VALU_DEP_2) | instskip(NEXT) | instid1(VALU_DEP_2)
	v_fmac_f32_e32 v37, 0x3f167918, v3
	v_fmac_f32_e32 v16, 0x3e9e377a, v10
	;; [unrolled: 1-line block ×3, first 2 shown]
	v_add_f32_e32 v3, v8, v11
	v_mul_f32_e32 v11, 0x3f4f1bbd, v30
	v_fmac_f32_e32 v37, 0x3e9e377a, v7
	s_delay_alu instid0(VALU_DEP_1) | instskip(SKIP_3) | instid1(VALU_DEP_4)
	v_fma_f32 v23, 0x3f737871, v37, -v6
	v_mul_f32_e32 v8, 0x3e9e377a, v37
	v_dual_add_f32 v6, v41, v14 :: v_dual_fmac_f32 v43, 0xbf167918, v36
	v_sub_f32_e32 v14, v41, v14
	v_dual_add_f32 v10, v18, v23 :: v_dual_fmac_f32 v25, 0x3f167918, v36
	s_delay_alu instid0(VALU_DEP_3) | instskip(NEXT) | instid1(VALU_DEP_2)
	v_dual_sub_f32 v18, v18, v23 :: v_dual_fmac_f32 v43, 0x3e9e377a, v26
	v_fmac_f32_e32 v25, 0x3e9e377a, v26
	v_fma_f32 v26, 0xbf737871, v20, -v8
	v_add_f32_e32 v8, v42, v16
	v_dual_sub_f32 v16, v42, v16 :: v_dual_fmac_f32 v27, 0xbf167918, v47
	v_sub_f32_e32 v15, v43, v17
	s_delay_alu instid0(VALU_DEP_2) | instskip(NEXT) | instid1(VALU_DEP_1)
	v_fmac_f32_e32 v27, 0x3e9e377a, v28
	v_mul_f32_e32 v7, 0x3f4f1bbd, v27
	v_fma_f32 v27, 0xbf167918, v27, -v11
	v_add_f32_e32 v11, v19, v26
	v_sub_f32_e32 v19, v19, v26
	s_delay_alu instid0(VALU_DEP_4) | instskip(SKIP_2) | instid1(VALU_DEP_3)
	v_fma_f32 v24, 0x3f167918, v30, -v7
	v_add_f32_e32 v7, v43, v17
	v_add_f32_e32 v13, v25, v27
	v_dual_sub_f32 v17, v44, v22 :: v_dual_add_f32 v12, v21, v24
	v_sub_f32_e32 v20, v21, v24
	v_sub_f32_e32 v21, v25, v27
	ds_store_2addr_b64 v38, v[2:3], v[6:7] offset1:170
	ds_store_2addr_b64 v33, v[8:9], v[10:11] offset0:84 offset1:254
	ds_store_2addr_b64 v1, v[12:13], v[4:5] offset0:40 offset1:210
	;; [unrolled: 1-line block ×4, first 2 shown]
	s_waitcnt lgkmcnt(0)
	s_barrier
	buffer_gl0_inv
	ds_load_b64 v[0:1], v38
	v_lshlrev_b32_e32 v2, 3, v32
                                        ; implicit-def: $vgpr7
                                        ; implicit-def: $vgpr8
                                        ; implicit-def: $vgpr4_vgpr5
	s_delay_alu instid0(VALU_DEP_1)
	v_sub_nc_u32_e32 v6, 0, v2
                                        ; implicit-def: $vgpr2
	v_cmpx_ne_u32_e32 0, v32
	s_xor_b32 s3, exec_lo, s3
	s_cbranch_execz .LBB0_15
; %bb.14:
	ds_load_b64 v[4:5], v6 offset:13600
	s_waitcnt lgkmcnt(0)
	v_dual_mov_b32 v33, 0 :: v_dual_add_f32 v8, v5, v1
	s_delay_alu instid0(VALU_DEP_1) | instskip(SKIP_1) | instid1(VALU_DEP_3)
	v_lshlrev_b64 v[2:3], 3, v[32:33]
	v_sub_f32_e32 v1, v1, v5
	v_mul_f32_e32 v9, 0.5, v8
	s_delay_alu instid0(VALU_DEP_3) | instskip(NEXT) | instid1(VALU_DEP_1)
	v_add_co_u32 v2, s0, s1, v2
	v_add_co_ci_u32_e64 v3, s0, s2, v3, s0
	global_load_b64 v[2:3], v[2:3], off
	v_sub_f32_e32 v7, v0, v4
	v_dual_add_f32 v0, v4, v0 :: v_dual_mul_f32 v1, 0.5, v1
	s_delay_alu instid0(VALU_DEP_2) | instskip(SKIP_1) | instid1(VALU_DEP_1)
	v_mul_f32_e32 v5, 0.5, v7
	s_waitcnt vmcnt(0)
	v_mul_f32_e32 v4, v3, v5
	s_delay_alu instid0(VALU_DEP_3) | instskip(SKIP_1) | instid1(VALU_DEP_3)
	v_fma_f32 v8, v9, v3, v1
	v_fma_f32 v1, v9, v3, -v1
	v_fma_f32 v7, 0.5, v0, v4
	v_fma_f32 v0, v0, 0.5, -v4
	s_delay_alu instid0(VALU_DEP_4) | instskip(NEXT) | instid1(VALU_DEP_4)
	v_fma_f32 v8, -v2, v5, v8
	v_fma_f32 v3, -v2, v5, v1
	s_delay_alu instid0(VALU_DEP_4) | instskip(NEXT) | instid1(VALU_DEP_4)
	v_dual_mov_b32 v4, v32 :: v_dual_fmac_f32 v7, v2, v9
	v_fma_f32 v2, -v2, v9, v0
	v_mov_b32_e32 v5, v33
                                        ; implicit-def: $vgpr0_vgpr1
.LBB0_15:
	s_and_not1_saveexec_b32 s0, s3
	s_cbranch_execz .LBB0_17
; %bb.16:
	s_waitcnt lgkmcnt(0)
	v_dual_mov_b32 v8, 0 :: v_dual_add_f32 v7, v0, v1
	v_mov_b32_e32 v4, 0
	v_dual_sub_f32 v2, v0, v1 :: v_dual_mov_b32 v5, 0
	ds_load_b32 v3, v8 offset:6804
	s_waitcnt lgkmcnt(0)
	v_xor_b32_e32 v0, 0x80000000, v3
	v_mov_b32_e32 v3, 0
	ds_store_b32 v8, v0 offset:6804
.LBB0_17:
	s_or_b32 exec_lo, exec_lo, s0
	s_waitcnt lgkmcnt(0)
	v_lshlrev_b64 v[0:1], 3, v[4:5]
	s_delay_alu instid0(VALU_DEP_1) | instskip(NEXT) | instid1(VALU_DEP_1)
	v_add_co_u32 v4, s0, s1, v0
	v_add_co_ci_u32_e64 v5, s0, s2, v1, s0
	s_clause 0x2
	global_load_b64 v[9:10], v[4:5], off offset:1360
	global_load_b64 v[11:12], v[4:5], off offset:2720
	;; [unrolled: 1-line block ×3, first 2 shown]
	v_add_co_u32 v4, s0, 0x1000, v4
	s_delay_alu instid0(VALU_DEP_1)
	v_add_co_ci_u32_e64 v5, s0, 0, v5, s0
	global_load_b64 v[15:16], v[4:5], off offset:1344
	ds_store_2addr_b32 v38, v7, v8 offset1:1
	ds_store_b64 v6, v[2:3] offset:13600
	ds_load_b64 v[2:3], v38 offset:1360
	ds_load_b64 v[4:5], v6 offset:12240
	s_waitcnt lgkmcnt(0)
	v_dual_sub_f32 v7, v2, v4 :: v_dual_add_f32 v8, v3, v5
	v_dual_sub_f32 v3, v3, v5 :: v_dual_add_f32 v2, v2, v4
	s_delay_alu instid0(VALU_DEP_2) | instskip(NEXT) | instid1(VALU_DEP_3)
	v_mul_f32_e32 v5, 0.5, v7
	v_mul_f32_e32 v7, 0.5, v8
	s_waitcnt vmcnt(3)
	s_delay_alu instid0(VALU_DEP_2) | instskip(NEXT) | instid1(VALU_DEP_1)
	v_dual_mul_f32 v3, 0.5, v3 :: v_dual_mul_f32 v4, v10, v5
	v_fma_f32 v8, v7, v10, v3
	v_fma_f32 v3, v7, v10, -v3
	s_delay_alu instid0(VALU_DEP_3)
	v_fma_f32 v10, 0.5, v2, v4
	v_fma_f32 v2, v2, 0.5, -v4
	v_add_nc_u32_e32 v4, 0x400, v38
	v_fma_f32 v8, -v9, v5, v8
	v_fma_f32 v3, -v9, v5, v3
	v_fmac_f32_e32 v10, v9, v7
	v_fma_f32 v2, -v9, v7, v2
	ds_store_2addr_b32 v4, v10, v8 offset0:84 offset1:85
	ds_store_b64 v6, v[2:3] offset:12240
	ds_load_b64 v[2:3], v38 offset:2720
	ds_load_b64 v[4:5], v6 offset:10880
	s_waitcnt lgkmcnt(0)
	v_dual_sub_f32 v7, v2, v4 :: v_dual_add_f32 v8, v3, v5
	v_dual_sub_f32 v3, v3, v5 :: v_dual_add_f32 v2, v2, v4
	s_delay_alu instid0(VALU_DEP_2) | instskip(SKIP_1) | instid1(VALU_DEP_1)
	v_mul_f32_e32 v5, 0.5, v7
	s_waitcnt vmcnt(2)
	v_dual_mul_f32 v7, 0.5, v8 :: v_dual_mul_f32 v4, v12, v5
	s_delay_alu instid0(VALU_DEP_1) | instskip(SKIP_2) | instid1(VALU_DEP_3)
	v_fma_f32 v9, 0.5, v2, v4
	v_fma_f32 v10, v2, 0.5, -v4
	v_dual_mul_f32 v3, 0.5, v3 :: v_dual_add_nc_u32 v2, 0x800, v38
	v_fmac_f32_e32 v9, v11, v7
	s_delay_alu instid0(VALU_DEP_2) | instskip(SKIP_1) | instid1(VALU_DEP_2)
	v_fma_f32 v8, v7, v12, v3
	v_fma_f32 v3, v7, v12, -v3
	v_fma_f32 v8, -v11, v5, v8
	s_delay_alu instid0(VALU_DEP_2)
	v_fma_f32 v4, -v11, v5, v3
	v_fma_f32 v3, -v11, v7, v10
	ds_store_2addr_b32 v2, v9, v8 offset0:168 offset1:169
	ds_store_b64 v6, v[3:4] offset:10880
	ds_load_b64 v[3:4], v38 offset:4080
	ds_load_b64 v[7:8], v6 offset:9520
	s_waitcnt lgkmcnt(0)
	v_add_f32_e32 v9, v4, v8
	v_dual_sub_f32 v5, v3, v7 :: v_dual_sub_f32 v4, v4, v8
	s_delay_alu instid0(VALU_DEP_2) | instskip(NEXT) | instid1(VALU_DEP_2)
	v_dual_add_f32 v3, v3, v7 :: v_dual_mul_f32 v8, 0.5, v9
	v_dual_mul_f32 v5, 0.5, v5 :: v_dual_mul_f32 v4, 0.5, v4
	s_waitcnt vmcnt(1)
	s_delay_alu instid0(VALU_DEP_1) | instskip(NEXT) | instid1(VALU_DEP_2)
	v_mul_f32_e32 v7, v14, v5
	v_fma_f32 v9, v8, v14, v4
	v_fma_f32 v4, v8, v14, -v4
	s_delay_alu instid0(VALU_DEP_3) | instskip(SKIP_1) | instid1(VALU_DEP_2)
	v_fma_f32 v10, 0.5, v3, v7
	v_fma_f32 v3, v3, 0.5, -v7
	v_dual_fmac_f32 v10, v13, v8 :: v_dual_add_nc_u32 v7, 0xc00, v38
	v_fma_f32 v9, -v13, v5, v9
	v_fma_f32 v4, -v13, v5, v4
	s_delay_alu instid0(VALU_DEP_4)
	v_fma_f32 v3, -v13, v8, v3
	ds_store_2addr_b32 v7, v10, v9 offset0:252 offset1:253
	ds_store_b64 v6, v[3:4] offset:9520
	ds_load_b64 v[3:4], v38 offset:5440
	ds_load_b64 v[7:8], v6 offset:8160
	s_waitcnt lgkmcnt(0)
	v_sub_f32_e32 v5, v3, v7
	v_add_f32_e32 v9, v4, v8
	v_dual_sub_f32 v4, v4, v8 :: v_dual_add_f32 v3, v3, v7
	s_delay_alu instid0(VALU_DEP_3) | instskip(NEXT) | instid1(VALU_DEP_2)
	v_mul_f32_e32 v5, 0.5, v5
	v_dual_mul_f32 v9, 0.5, v9 :: v_dual_mul_f32 v4, 0.5, v4
	s_waitcnt vmcnt(0)
	s_delay_alu instid0(VALU_DEP_2) | instskip(NEXT) | instid1(VALU_DEP_2)
	v_mul_f32_e32 v7, v16, v5
	v_fma_f32 v8, v9, v16, v4
	v_fma_f32 v10, v9, v16, -v4
	v_add_nc_u32_e32 v4, 0x1400, v38
	s_delay_alu instid0(VALU_DEP_4) | instskip(SKIP_3) | instid1(VALU_DEP_4)
	v_fma_f32 v11, 0.5, v3, v7
	v_fma_f32 v3, v3, 0.5, -v7
	v_fma_f32 v12, -v15, v5, v8
	v_fma_f32 v8, -v15, v5, v10
	v_fmac_f32_e32 v11, v15, v9
	s_delay_alu instid0(VALU_DEP_4)
	v_fma_f32 v7, -v15, v9, v3
	ds_store_2addr_b32 v4, v11, v12 offset0:80 offset1:81
	ds_store_b64 v6, v[7:8] offset:8160
	s_waitcnt lgkmcnt(0)
	s_barrier
	buffer_gl0_inv
	s_and_saveexec_b32 s0, vcc_lo
	s_cbranch_execz .LBB0_20
; %bb.18:
	ds_load_2addr_b64 v[5:8], v38 offset1:170
	ds_load_2addr_b64 v[9:12], v2 offset0:84 offset1:254
	ds_load_2addr_b64 v[13:16], v4 offset0:40 offset1:210
	v_add_nc_u32_e32 v4, 0x1e00, v38
	v_add_nc_u32_e32 v21, 0x2800, v38
	v_add_co_u32 v2, vcc_lo, s8, v34
	ds_load_2addr_b64 v[17:20], v4 offset0:60 offset1:230
	ds_load_2addr_b64 v[21:24], v21 offset0:80 offset1:250
	v_add_co_ci_u32_e32 v3, vcc_lo, s9, v35, vcc_lo
	v_add_co_u32 v0, vcc_lo, v2, v0
	s_delay_alu instid0(VALU_DEP_2) | instskip(NEXT) | instid1(VALU_DEP_2)
	v_add_co_ci_u32_e32 v1, vcc_lo, v3, v1, vcc_lo
	v_add_co_u32 v4, vcc_lo, 0x1000, v0
	s_waitcnt lgkmcnt(4)
	s_clause 0x1
	global_store_b64 v[0:1], v[5:6], off
	global_store_b64 v[0:1], v[7:8], off offset:1360
	s_waitcnt lgkmcnt(3)
	s_clause 0x1
	global_store_b64 v[0:1], v[9:10], off offset:2720
	global_store_b64 v[0:1], v[11:12], off offset:4080
	v_add_co_ci_u32_e32 v5, vcc_lo, 0, v1, vcc_lo
	v_add_co_u32 v0, vcc_lo, 0x2000, v0
	v_add_co_ci_u32_e32 v1, vcc_lo, 0, v1, vcc_lo
	v_cmp_eq_u32_e32 vcc_lo, 0xa9, v32
	s_waitcnt lgkmcnt(2)
	s_clause 0x1
	global_store_b64 v[4:5], v[13:14], off offset:1344
	global_store_b64 v[4:5], v[15:16], off offset:2704
	s_waitcnt lgkmcnt(1)
	s_clause 0x1
	global_store_b64 v[4:5], v[17:18], off offset:4064
	global_store_b64 v[0:1], v[19:20], off offset:1328
	;; [unrolled: 4-line block ×3, first 2 shown]
	s_and_b32 exec_lo, exec_lo, vcc_lo
	s_cbranch_execz .LBB0_20
; %bb.19:
	v_mov_b32_e32 v0, 0
	v_add_co_u32 v2, vcc_lo, 0x3000, v2
	v_add_co_ci_u32_e32 v3, vcc_lo, 0, v3, vcc_lo
	ds_load_b64 v[0:1], v0 offset:13600
	s_waitcnt lgkmcnt(0)
	global_store_b64 v[2:3], v[0:1], off offset:1312
.LBB0_20:
	s_nop 0
	s_sendmsg sendmsg(MSG_DEALLOC_VGPRS)
	s_endpgm
	.section	.rodata,"a",@progbits
	.p2align	6, 0x0
	.amdhsa_kernel fft_rtc_fwd_len1700_factors_17_10_10_wgs_170_tpt_170_halfLds_sp_ip_CI_unitstride_sbrr_R2C_dirReg
		.amdhsa_group_segment_fixed_size 0
		.amdhsa_private_segment_fixed_size 0
		.amdhsa_kernarg_size 88
		.amdhsa_user_sgpr_count 15
		.amdhsa_user_sgpr_dispatch_ptr 0
		.amdhsa_user_sgpr_queue_ptr 0
		.amdhsa_user_sgpr_kernarg_segment_ptr 1
		.amdhsa_user_sgpr_dispatch_id 0
		.amdhsa_user_sgpr_private_segment_size 0
		.amdhsa_wavefront_size32 1
		.amdhsa_uses_dynamic_stack 0
		.amdhsa_enable_private_segment 0
		.amdhsa_system_sgpr_workgroup_id_x 1
		.amdhsa_system_sgpr_workgroup_id_y 0
		.amdhsa_system_sgpr_workgroup_id_z 0
		.amdhsa_system_sgpr_workgroup_info 0
		.amdhsa_system_vgpr_workitem_id 0
		.amdhsa_next_free_vgpr 174
		.amdhsa_next_free_sgpr 21
		.amdhsa_reserve_vcc 1
		.amdhsa_float_round_mode_32 0
		.amdhsa_float_round_mode_16_64 0
		.amdhsa_float_denorm_mode_32 3
		.amdhsa_float_denorm_mode_16_64 3
		.amdhsa_dx10_clamp 1
		.amdhsa_ieee_mode 1
		.amdhsa_fp16_overflow 0
		.amdhsa_workgroup_processor_mode 1
		.amdhsa_memory_ordered 1
		.amdhsa_forward_progress 0
		.amdhsa_shared_vgpr_count 0
		.amdhsa_exception_fp_ieee_invalid_op 0
		.amdhsa_exception_fp_denorm_src 0
		.amdhsa_exception_fp_ieee_div_zero 0
		.amdhsa_exception_fp_ieee_overflow 0
		.amdhsa_exception_fp_ieee_underflow 0
		.amdhsa_exception_fp_ieee_inexact 0
		.amdhsa_exception_int_div_zero 0
	.end_amdhsa_kernel
	.text
.Lfunc_end0:
	.size	fft_rtc_fwd_len1700_factors_17_10_10_wgs_170_tpt_170_halfLds_sp_ip_CI_unitstride_sbrr_R2C_dirReg, .Lfunc_end0-fft_rtc_fwd_len1700_factors_17_10_10_wgs_170_tpt_170_halfLds_sp_ip_CI_unitstride_sbrr_R2C_dirReg
                                        ; -- End function
	.section	.AMDGPU.csdata,"",@progbits
; Kernel info:
; codeLenInByte = 11168
; NumSgprs: 23
; NumVgprs: 174
; ScratchSize: 0
; MemoryBound: 0
; FloatMode: 240
; IeeeMode: 1
; LDSByteSize: 0 bytes/workgroup (compile time only)
; SGPRBlocks: 2
; VGPRBlocks: 21
; NumSGPRsForWavesPerEU: 23
; NumVGPRsForWavesPerEU: 174
; Occupancy: 8
; WaveLimiterHint : 1
; COMPUTE_PGM_RSRC2:SCRATCH_EN: 0
; COMPUTE_PGM_RSRC2:USER_SGPR: 15
; COMPUTE_PGM_RSRC2:TRAP_HANDLER: 0
; COMPUTE_PGM_RSRC2:TGID_X_EN: 1
; COMPUTE_PGM_RSRC2:TGID_Y_EN: 0
; COMPUTE_PGM_RSRC2:TGID_Z_EN: 0
; COMPUTE_PGM_RSRC2:TIDIG_COMP_CNT: 0
	.text
	.p2alignl 7, 3214868480
	.fill 96, 4, 3214868480
	.type	__hip_cuid_1e9a554425e5affc,@object ; @__hip_cuid_1e9a554425e5affc
	.section	.bss,"aw",@nobits
	.globl	__hip_cuid_1e9a554425e5affc
__hip_cuid_1e9a554425e5affc:
	.byte	0                               ; 0x0
	.size	__hip_cuid_1e9a554425e5affc, 1

	.ident	"AMD clang version 19.0.0git (https://github.com/RadeonOpenCompute/llvm-project roc-6.4.0 25133 c7fe45cf4b819c5991fe208aaa96edf142730f1d)"
	.section	".note.GNU-stack","",@progbits
	.addrsig
	.addrsig_sym __hip_cuid_1e9a554425e5affc
	.amdgpu_metadata
---
amdhsa.kernels:
  - .args:
      - .actual_access:  read_only
        .address_space:  global
        .offset:         0
        .size:           8
        .value_kind:     global_buffer
      - .offset:         8
        .size:           8
        .value_kind:     by_value
      - .actual_access:  read_only
        .address_space:  global
        .offset:         16
        .size:           8
        .value_kind:     global_buffer
      - .actual_access:  read_only
        .address_space:  global
        .offset:         24
        .size:           8
        .value_kind:     global_buffer
      - .offset:         32
        .size:           8
        .value_kind:     by_value
      - .actual_access:  read_only
        .address_space:  global
        .offset:         40
        .size:           8
        .value_kind:     global_buffer
      - .actual_access:  read_only
        .address_space:  global
        .offset:         48
        .size:           8
        .value_kind:     global_buffer
      - .offset:         56
        .size:           4
        .value_kind:     by_value
      - .actual_access:  read_only
        .address_space:  global
        .offset:         64
        .size:           8
        .value_kind:     global_buffer
      - .actual_access:  read_only
        .address_space:  global
        .offset:         72
        .size:           8
        .value_kind:     global_buffer
      - .address_space:  global
        .offset:         80
        .size:           8
        .value_kind:     global_buffer
    .group_segment_fixed_size: 0
    .kernarg_segment_align: 8
    .kernarg_segment_size: 88
    .language:       OpenCL C
    .language_version:
      - 2
      - 0
    .max_flat_workgroup_size: 170
    .name:           fft_rtc_fwd_len1700_factors_17_10_10_wgs_170_tpt_170_halfLds_sp_ip_CI_unitstride_sbrr_R2C_dirReg
    .private_segment_fixed_size: 0
    .sgpr_count:     23
    .sgpr_spill_count: 0
    .symbol:         fft_rtc_fwd_len1700_factors_17_10_10_wgs_170_tpt_170_halfLds_sp_ip_CI_unitstride_sbrr_R2C_dirReg.kd
    .uniform_work_group_size: 1
    .uses_dynamic_stack: false
    .vgpr_count:     174
    .vgpr_spill_count: 0
    .wavefront_size: 32
    .workgroup_processor_mode: 1
amdhsa.target:   amdgcn-amd-amdhsa--gfx1100
amdhsa.version:
  - 1
  - 2
...

	.end_amdgpu_metadata
